;; amdgpu-corpus repo=ROCm/rocFFT kind=compiled arch=gfx1030 opt=O3
	.text
	.amdgcn_target "amdgcn-amd-amdhsa--gfx1030"
	.amdhsa_code_object_version 6
	.protected	bluestein_single_back_len1014_dim1_dp_op_CI_CI ; -- Begin function bluestein_single_back_len1014_dim1_dp_op_CI_CI
	.globl	bluestein_single_back_len1014_dim1_dp_op_CI_CI
	.p2align	8
	.type	bluestein_single_back_len1014_dim1_dp_op_CI_CI,@function
bluestein_single_back_len1014_dim1_dp_op_CI_CI: ; @bluestein_single_back_len1014_dim1_dp_op_CI_CI
; %bb.0:
	s_load_dwordx4 s[16:19], s[4:5], 0x28
	v_mul_u32_u24_e32 v1, 0x349, v0
	s_mov_b64 s[50:51], s[2:3]
	s_mov_b64 s[48:49], s[0:1]
	v_mov_b32_e32 v7, 0
	s_add_u32 s48, s48, s7
	v_lshrrev_b32_e32 v1, 16, v1
	s_addc_u32 s49, s49, 0
	s_mov_b32 s0, exec_lo
	v_lshl_add_u32 v6, s6, 1, v1
	s_waitcnt lgkmcnt(0)
	v_cmpx_gt_u64_e64 s[16:17], v[6:7]
	s_cbranch_execz .LBB0_10
; %bb.1:
	s_clause 0x1
	s_load_dwordx4 s[8:11], s[4:5], 0x18
	s_load_dwordx4 s[0:3], s[4:5], 0x0
	v_mul_lo_u16 v2, 0x4e, v1
	v_mov_b32_e32 v7, v6
	v_and_b32_e32 v1, 1, v1
	s_mov_b32 s26, 0x42a4c3d2
	s_mov_b32 s30, 0x66966769
	v_sub_nc_u16 v0, v0, v2
	s_mov_b32 s20, 0x24c2f84
	s_mov_b32 s28, 0x4bc48dbf
	;; [unrolled: 1-line block ×4, first 2 shown]
	v_and_b32_e32 v13, 0xffff, v0
	s_mov_b32 s27, 0xbfea55e2
	s_mov_b32 s31, 0xbfefc445
	;; [unrolled: 1-line block ×7, first 2 shown]
	s_waitcnt lgkmcnt(0)
	s_load_dwordx4 s[12:15], s[8:9], 0x0
	buffer_store_dword v7, off, s[48:51], 0 offset:4 ; 4-byte Folded Spill
	buffer_store_dword v8, off, s[48:51], 0 offset:8 ; 4-byte Folded Spill
	s_mov_b32 s25, 0xbfef11f4
	s_mov_b32 s37, 0x3fe5384d
	;; [unrolled: 1-line block ×6, first 2 shown]
	s_load_dwordx2 s[4:5], s[4:5], 0x38
                                        ; implicit-def: $vgpr164_vgpr165
                                        ; implicit-def: $vgpr168_vgpr169
                                        ; implicit-def: $vgpr172_vgpr173
                                        ; implicit-def: $vgpr176_vgpr177
                                        ; implicit-def: $vgpr180_vgpr181
	s_waitcnt lgkmcnt(0)
	v_mad_u64_u32 v[2:3], null, s14, v6, 0
	v_mad_u64_u32 v[4:5], null, s12, v13, 0
	s_mul_hi_u32 s6, s12, 0x4e0
	v_mad_u64_u32 v[6:7], null, s15, v6, v[3:4]
	s_mov_b32 s14, 0xe00740e9
	s_mov_b32 s15, 0x3fec55a7
	v_mad_u64_u32 v[7:8], null, s13, v13, v[5:6]
	v_mov_b32_e32 v3, v6
	v_lshlrev_b64 v[2:3], 4, v[2:3]
	v_mov_b32_e32 v5, v7
	v_add_co_u32 v6, vcc_lo, s18, v2
	v_lshlrev_b64 v[4:5], 4, v[4:5]
	v_add_co_ci_u32_e32 v3, vcc_lo, s19, v3, vcc_lo
	v_lshlrev_b32_e32 v2, 4, v13
	s_mov_b32 s18, 0x2ef20147
	s_mov_b32 s19, 0xbfedeba7
	v_add_co_u32 v10, vcc_lo, v6, v4
	v_add_co_ci_u32_e32 v11, vcc_lo, v3, v5, vcc_lo
	s_clause 0x1
	global_load_dwordx4 v[14:17], v2, s[0:1]
	global_load_dwordx4 v[64:67], v2, s[0:1] offset:1248
	global_load_dwordx4 v[3:6], v[10:11], off
	v_add_co_u32 v8, s0, s0, v2
	v_add_co_ci_u32_e64 v9, null, s1, 0, s0
	s_mul_i32 s0, s13, 0x4e0
	s_mul_i32 s1, s12, 0x4e0
	s_add_i32 s0, s6, s0
	v_add_co_u32 v10, vcc_lo, v10, s1
	v_add_co_ci_u32_e32 v11, vcc_lo, s0, v11, vcc_lo
	v_add_co_u32 v28, vcc_lo, 0x800, v8
	v_add_co_ci_u32_e32 v29, vcc_lo, 0, v9, vcc_lo
	global_load_dwordx4 v[20:23], v[10:11], off
	v_add_co_u32 v10, vcc_lo, v10, s1
	v_add_co_ci_u32_e32 v11, vcc_lo, s0, v11, vcc_lo
	global_load_dwordx4 v[68:71], v[28:29], off offset:448
	global_load_dwordx4 v[24:27], v[10:11], off
	v_add_co_u32 v10, vcc_lo, v10, s1
	v_add_co_ci_u32_e32 v11, vcc_lo, s0, v11, vcc_lo
	v_add_co_u32 v30, vcc_lo, 0x1000, v8
	v_add_co_ci_u32_e32 v31, vcc_lo, 0, v9, vcc_lo
	global_load_dwordx4 v[76:79], v[28:29], off offset:1696
	global_load_dwordx4 v[36:39], v[10:11], off
	v_add_co_u32 v10, vcc_lo, v10, s1
	v_add_co_ci_u32_e32 v11, vcc_lo, s0, v11, vcc_lo
	global_load_dwordx4 v[72:75], v[30:31], off offset:896
	global_load_dwordx4 v[40:43], v[10:11], off
	v_add_co_u32 v48, vcc_lo, 0x1800, v8
	v_add_co_ci_u32_e32 v49, vcc_lo, 0, v9, vcc_lo
	v_add_co_u32 v10, vcc_lo, v10, s1
	v_add_co_ci_u32_e32 v11, vcc_lo, s0, v11, vcc_lo
	global_load_dwordx4 v[28:31], v[48:49], off offset:96
	global_load_dwordx4 v[44:47], v[10:11], off
	v_add_co_u32 v10, vcc_lo, v10, s1
	v_add_co_ci_u32_e32 v11, vcc_lo, s0, v11, vcc_lo
	global_load_dwordx4 v[32:35], v[48:49], off offset:1344
	global_load_dwordx4 v[48:51], v[10:11], off
	v_add_co_u32 v10, vcc_lo, v10, s1
	v_add_co_ci_u32_e32 v11, vcc_lo, s0, v11, vcc_lo
	s_mov_b32 s12, 0x1ea71119
	s_mov_b32 s6, 0xb2365da1
	;; [unrolled: 1-line block ×5, first 2 shown]
	s_waitcnt vmcnt(11)
	v_mul_f64 v[52:53], v[5:6], v[16:17]
	v_mul_f64 v[54:55], v[3:4], v[16:17]
	s_waitcnt vmcnt(10)
	v_mul_f64 v[56:57], v[22:23], v[66:67]
	v_mul_f64 v[58:59], v[20:21], v[66:67]
	v_fma_f64 v[3:4], v[3:4], v[14:15], v[52:53]
	s_waitcnt vmcnt(8)
	v_mul_f64 v[60:61], v[26:27], v[70:71]
	buffer_store_dword v14, off, s[48:51], 0 offset:16 ; 4-byte Folded Spill
	buffer_store_dword v15, off, s[48:51], 0 offset:20 ; 4-byte Folded Spill
	;; [unrolled: 1-line block ×4, first 2 shown]
	v_mul_f64 v[62:63], v[24:25], v[70:71]
	v_fma_f64 v[52:53], v[20:21], v[64:65], v[56:57]
	buffer_store_dword v64, off, s[48:51], 0 offset:64 ; 4-byte Folded Spill
	buffer_store_dword v65, off, s[48:51], 0 offset:68 ; 4-byte Folded Spill
	buffer_store_dword v66, off, s[48:51], 0 offset:72 ; 4-byte Folded Spill
	buffer_store_dword v67, off, s[48:51], 0 offset:76 ; 4-byte Folded Spill
	s_waitcnt vmcnt(6)
	v_mul_f64 v[20:21], v[38:39], v[78:79]
	v_fma_f64 v[56:57], v[24:25], v[68:69], v[60:61]
	buffer_store_dword v68, off, s[48:51], 0 offset:80 ; 4-byte Folded Spill
	buffer_store_dword v69, off, s[48:51], 0 offset:84 ; 4-byte Folded Spill
	;; [unrolled: 1-line block ×4, first 2 shown]
	s_waitcnt vmcnt(4)
	v_mul_f64 v[24:25], v[42:43], v[74:75]
	v_fma_f64 v[60:61], v[36:37], v[76:77], v[20:21]
	s_waitcnt vmcnt(2)
	v_mul_f64 v[20:21], v[46:47], v[30:31]
	v_fma_f64 v[5:6], v[5:6], v[14:15], -v[54:55]
	v_fma_f64 v[54:55], v[22:23], v[64:65], -v[58:59]
	v_mul_f64 v[22:23], v[36:37], v[78:79]
	buffer_store_dword v76, off, s[48:51], 0 offset:144 ; 4-byte Folded Spill
	buffer_store_dword v77, off, s[48:51], 0 offset:148 ; 4-byte Folded Spill
	;; [unrolled: 1-line block ×4, first 2 shown]
	v_fma_f64 v[64:65], v[40:41], v[72:73], v[24:25]
	s_waitcnt vmcnt(0)
	v_mul_f64 v[24:25], v[50:51], v[34:35]
	v_fma_f64 v[58:59], v[26:27], v[68:69], -v[62:63]
	v_mul_f64 v[26:27], v[40:41], v[74:75]
	buffer_store_dword v72, off, s[48:51], 0 offset:128 ; 4-byte Folded Spill
	buffer_store_dword v73, off, s[48:51], 0 offset:132 ; 4-byte Folded Spill
	buffer_store_dword v74, off, s[48:51], 0 offset:136 ; 4-byte Folded Spill
	buffer_store_dword v75, off, s[48:51], 0 offset:140 ; 4-byte Folded Spill
	v_add_co_u32 v40, vcc_lo, 0x2000, v8
	v_add_co_ci_u32_e32 v41, vcc_lo, 0, v9, vcc_lo
	v_fma_f64 v[68:69], v[44:45], v[28:29], v[20:21]
	v_fma_f64 v[62:63], v[38:39], v[76:77], -v[22:23]
	v_mul_f64 v[22:23], v[44:45], v[30:31]
	buffer_store_dword v28, off, s[48:51], 0 offset:32 ; 4-byte Folded Spill
	buffer_store_dword v29, off, s[48:51], 0 offset:36 ; 4-byte Folded Spill
	;; [unrolled: 1-line block ×4, first 2 shown]
	v_fma_f64 v[66:67], v[42:43], v[72:73], -v[26:27]
	v_mul_f64 v[26:27], v[48:49], v[34:35]
	v_fma_f64 v[72:73], v[48:49], v[32:33], v[24:25]
	buffer_store_dword v32, off, s[48:51], 0 offset:48 ; 4-byte Folded Spill
	buffer_store_dword v33, off, s[48:51], 0 offset:52 ; 4-byte Folded Spill
	;; [unrolled: 1-line block ×4, first 2 shown]
	global_load_dwordx4 v[36:39], v[10:11], off
	s_clause 0x1
	global_load_dwordx4 v[14:17], v[40:41], off offset:544
	global_load_dwordx4 v[18:21], v[40:41], off offset:1792
	v_add_co_u32 v10, vcc_lo, v10, s1
	v_add_co_ci_u32_e32 v11, vcc_lo, s0, v11, vcc_lo
	v_fma_f64 v[70:71], v[46:47], v[28:29], -v[22:23]
	v_fma_f64 v[74:75], v[50:51], v[32:33], -v[26:27]
	s_waitcnt vmcnt(1)
	v_mul_f64 v[40:41], v[38:39], v[16:17]
	v_mul_f64 v[42:43], v[36:37], v[16:17]
	v_fma_f64 v[76:77], v[36:37], v[14:15], v[40:41]
	buffer_store_dword v14, off, s[48:51], 0 offset:96 ; 4-byte Folded Spill
	buffer_store_dword v15, off, s[48:51], 0 offset:100 ; 4-byte Folded Spill
	;; [unrolled: 1-line block ×4, first 2 shown]
	v_fma_f64 v[78:79], v[38:39], v[14:15], -v[42:43]
	global_load_dwordx4 v[36:39], v[10:11], off
	v_add_co_u32 v10, vcc_lo, v10, s1
	v_add_co_ci_u32_e32 v11, vcc_lo, s0, v11, vcc_lo
	s_waitcnt vmcnt(0)
	v_mul_f64 v[40:41], v[38:39], v[20:21]
	v_mul_f64 v[42:43], v[36:37], v[20:21]
	v_fma_f64 v[80:81], v[36:37], v[18:19], v[40:41]
	buffer_store_dword v18, off, s[48:51], 0 offset:112 ; 4-byte Folded Spill
	buffer_store_dword v19, off, s[48:51], 0 offset:116 ; 4-byte Folded Spill
	;; [unrolled: 1-line block ×4, first 2 shown]
	v_add_co_u32 v36, vcc_lo, 0x2800, v8
	v_add_co_ci_u32_e32 v37, vcc_lo, 0, v9, vcc_lo
	v_fma_f64 v[82:83], v[38:39], v[18:19], -v[42:43]
	global_load_dwordx4 v[36:39], v[36:37], off offset:992
	global_load_dwordx4 v[40:43], v[10:11], off
	v_add_co_u32 v10, vcc_lo, v10, s1
	v_add_co_ci_u32_e32 v11, vcc_lo, s0, v11, vcc_lo
	s_waitcnt vmcnt(0)
	v_mul_f64 v[44:45], v[42:43], v[38:39]
	v_mul_f64 v[46:47], v[40:41], v[38:39]
	v_fma_f64 v[84:85], v[40:41], v[36:37], v[44:45]
	v_add_co_u32 v44, vcc_lo, 0x3000, v8
	v_add_co_ci_u32_e32 v45, vcc_lo, 0, v9, vcc_lo
	v_fma_f64 v[86:87], v[42:43], v[36:37], -v[46:47]
	s_clause 0x1
	global_load_dwordx4 v[40:43], v[44:45], off offset:192
	global_load_dwordx4 v[44:47], v[44:45], off offset:1440
	global_load_dwordx4 v[48:51], v[10:11], off
	v_add_co_u32 v10, vcc_lo, v10, s1
	v_add_co_ci_u32_e32 v11, vcc_lo, s0, v11, vcc_lo
	s_waitcnt vmcnt(0)
	v_mul_f64 v[88:89], v[50:51], v[42:43]
	v_mul_f64 v[90:91], v[48:49], v[42:43]
	v_fma_f64 v[88:89], v[48:49], v[40:41], v[88:89]
	v_fma_f64 v[90:91], v[50:51], v[40:41], -v[90:91]
	global_load_dwordx4 v[48:51], v[10:11], off
	v_add_co_u32 v10, vcc_lo, v10, s1
	v_add_co_ci_u32_e32 v11, vcc_lo, s0, v11, vcc_lo
	v_add_co_u32 v200, vcc_lo, 0x3800, v8
	v_add_co_ci_u32_e32 v201, vcc_lo, 0, v9, vcc_lo
	v_cmp_eq_u32_e32 vcc_lo, 1, v1
	s_mov_b32 s0, 0xebaa3ed8
	s_mov_b32 s1, 0x3fbedb7d
	v_cndmask_b32_e64 v7, 0, 0x3f60, vcc_lo
	v_cmp_gt_u16_e32 vcc_lo, 13, v0
	v_add_nc_u32_e32 v255, v7, v2
	s_waitcnt vmcnt(0)
	v_mul_f64 v[92:93], v[50:51], v[46:47]
	v_mul_f64 v[94:95], v[48:49], v[46:47]
	v_fma_f64 v[92:93], v[48:49], v[44:45], v[92:93]
	v_fma_f64 v[94:95], v[50:51], v[44:45], -v[94:95]
	global_load_dwordx4 v[96:99], v[10:11], off
	global_load_dwordx4 v[48:51], v[200:201], off offset:640
	ds_write_b128 v255, v[3:6]
	ds_write_b128 v255, v[52:55] offset:1248
	ds_write_b128 v255, v[56:59] offset:2496
	;; [unrolled: 1-line block ×9, first 2 shown]
	s_load_dwordx4 s[8:11], s[10:11], 0x0
	s_waitcnt vmcnt(0)
	v_mul_f64 v[10:11], v[98:99], v[50:51]
	v_mul_f64 v[100:101], v[96:97], v[50:51]
	v_fma_f64 v[96:97], v[96:97], v[48:49], v[10:11]
	v_fma_f64 v[98:99], v[98:99], v[48:49], -v[100:101]
	ds_write_b128 v255, v[88:91] offset:12480
	ds_write_b128 v255, v[92:95] offset:13728
	;; [unrolled: 1-line block ×3, first 2 shown]
	s_waitcnt lgkmcnt(0)
	s_waitcnt_vscnt null, 0x0
	s_barrier
	buffer_gl0_inv
	ds_read_b128 v[52:55], v255
	ds_read_b128 v[56:59], v255 offset:1248
	ds_read_b128 v[60:63], v255 offset:2496
	;; [unrolled: 1-line block ×7, first 2 shown]
	s_waitcnt lgkmcnt(6)
	v_add_f64 v[1:2], v[52:53], v[56:57]
	v_add_f64 v[3:4], v[54:55], v[58:59]
	s_waitcnt lgkmcnt(0)
	v_add_f64 v[90:91], v[76:77], v[80:81]
	v_add_f64 v[84:85], v[78:79], v[82:83]
	v_add_f64 v[92:93], v[76:77], -v[80:81]
	v_add_f64 v[94:95], v[78:79], -v[82:83]
	v_add_f64 v[1:2], v[1:2], v[60:61]
	v_add_f64 v[3:4], v[3:4], v[62:63]
	;; [unrolled: 1-line block ×12, first 2 shown]
	ds_read_b128 v[1:4], v255 offset:9984
	ds_read_b128 v[80:83], v255 offset:11232
	s_waitcnt lgkmcnt(1)
	v_add_f64 v[76:77], v[72:73], v[1:2]
	v_add_f64 v[78:79], v[74:75], v[3:4]
	v_add_f64 v[86:87], v[72:73], -v[1:2]
	v_add_f64 v[88:89], v[74:75], -v[3:4]
	v_add_f64 v[1:2], v[5:6], v[1:2]
	v_add_f64 v[3:4], v[10:11], v[3:4]
	s_waitcnt lgkmcnt(0)
	v_add_f64 v[72:73], v[68:69], v[80:81]
	v_add_f64 v[74:75], v[70:71], v[82:83]
	v_add_f64 v[100:101], v[68:69], -v[80:81]
	v_add_f64 v[102:103], v[70:71], -v[82:83]
	v_add_f64 v[5:6], v[1:2], v[80:81]
	v_add_f64 v[10:11], v[3:4], v[82:83]
	ds_read_b128 v[1:4], v255 offset:12480
	ds_read_b128 v[96:99], v255 offset:13728
	buffer_store_dword v7, off, s[48:51], 0 ; 4-byte Folded Spill
	s_waitcnt lgkmcnt(1)
	v_add_f64 v[68:69], v[64:65], v[1:2]
	v_add_f64 v[70:71], v[66:67], v[3:4]
	v_add_f64 v[104:105], v[64:65], -v[1:2]
	v_add_f64 v[106:107], v[66:67], -v[3:4]
	v_add_f64 v[1:2], v[5:6], v[1:2]
	v_add_f64 v[3:4], v[10:11], v[3:4]
	s_waitcnt lgkmcnt(0)
	v_add_f64 v[80:81], v[60:61], v[96:97]
	v_add_f64 v[108:109], v[60:61], -v[96:97]
	v_add_f64 v[82:83], v[62:63], v[98:99]
	v_add_f64 v[110:111], v[62:63], -v[98:99]
	v_add_f64 v[5:6], v[1:2], v[96:97]
	v_add_f64 v[10:11], v[3:4], v[98:99]
	ds_read_b128 v[1:4], v255 offset:14976
	s_waitcnt lgkmcnt(0)
	s_waitcnt_vscnt null, 0x0
	s_barrier
	buffer_gl0_inv
	v_add_f64 v[60:61], v[58:59], -v[3:4]
	v_add_f64 v[66:67], v[56:57], -v[1:2]
	v_add_f64 v[62:63], v[56:57], v[1:2]
	v_add_f64 v[64:65], v[58:59], v[3:4]
	;; [unrolled: 1-line block ×4, first 2 shown]
	v_mul_f64 v[1:2], v[60:61], s[22:23]
	v_mul_f64 v[3:4], v[60:61], s[26:27]
	;; [unrolled: 1-line block ×10, first 2 shown]
	v_fma_f64 v[98:99], v[62:63], s[14:15], -v[1:2]
	v_fma_f64 v[1:2], v[62:63], s[14:15], v[1:2]
	v_fma_f64 v[112:113], v[62:63], s[12:13], -v[3:4]
	v_fma_f64 v[3:4], v[62:63], s[12:13], v[3:4]
	;; [unrolled: 2-line block ×6, first 2 shown]
	v_mul_f64 v[62:63], v[66:67], s[22:23]
	v_mul_f64 v[66:67], v[66:67], s[28:29]
	v_fma_f64 v[134:135], v[64:65], s[0:1], v[122:123]
	v_fma_f64 v[122:123], v[64:65], s[0:1], -v[122:123]
	v_fma_f64 v[132:133], v[64:65], s[12:13], v[120:121]
	v_fma_f64 v[120:121], v[64:65], s[12:13], -v[120:121]
	;; [unrolled: 2-line block ×4, first 2 shown]
	s_mov_b32 s23, 0x3fddbe06
	v_add_f64 v[1:2], v[52:53], v[1:2]
	v_add_f64 v[142:143], v[52:53], v[112:113]
	;; [unrolled: 1-line block ×10, first 2 shown]
	v_fma_f64 v[130:131], v[64:65], s[14:15], v[62:63]
	v_fma_f64 v[62:63], v[64:65], s[14:15], -v[62:63]
	v_fma_f64 v[140:141], v[64:65], s[24:25], v[66:67]
	v_fma_f64 v[64:65], v[64:65], s[24:25], -v[66:67]
	v_add_f64 v[66:67], v[52:53], v[98:99]
	v_add_f64 v[148:149], v[54:55], v[122:123]
	;; [unrolled: 1-line block ×3, first 2 shown]
	v_mul_f64 v[52:53], v[110:111], s[26:27]
	v_add_f64 v[132:133], v[54:55], v[132:133]
	v_add_f64 v[144:145], v[54:55], v[120:121]
	v_add_f64 v[134:135], v[54:55], v[134:135]
	v_add_f64 v[136:137], v[54:55], v[136:137]
	v_add_f64 v[152:153], v[54:55], v[126:127]
	v_add_f64 v[138:139], v[54:55], v[138:139]
	v_add_f64 v[120:121], v[54:55], v[128:129]
	v_mul_f64 v[96:97], v[104:105], s[30:31]
	v_mul_f64 v[124:125], v[100:101], s[18:19]
	;; [unrolled: 1-line block ×4, first 2 shown]
	v_add_f64 v[98:99], v[54:55], v[130:131]
	v_add_f64 v[130:131], v[54:55], v[62:63]
	;; [unrolled: 1-line block ×4, first 2 shown]
	v_mul_f64 v[64:65], v[108:109], s[26:27]
	v_mul_f64 v[140:141], v[94:95], s[28:29]
	v_fma_f64 v[54:55], v[80:81], s[12:13], -v[52:53]
	v_fma_f64 v[52:53], v[80:81], s[12:13], v[52:53]
	v_fma_f64 v[60:61], v[82:83], s[12:13], v[64:65]
	v_add_f64 v[54:55], v[54:55], v[66:67]
	v_mul_f64 v[66:67], v[106:107], s[30:31]
	v_add_f64 v[1:2], v[52:53], v[1:2]
	v_fma_f64 v[52:53], v[82:83], s[12:13], -v[64:65]
	v_add_f64 v[60:61], v[60:61], v[98:99]
	v_mul_f64 v[98:99], v[102:103], s[18:19]
	v_fma_f64 v[62:63], v[68:69], s[0:1], -v[66:67]
	v_fma_f64 v[64:65], v[68:69], s[0:1], v[66:67]
	v_add_f64 v[52:53], v[52:53], v[130:131]
	v_mul_f64 v[130:131], v[100:101], s[36:37]
	v_add_f64 v[54:55], v[62:63], v[54:55]
	v_fma_f64 v[62:63], v[70:71], s[0:1], v[96:97]
	v_add_f64 v[1:2], v[64:65], v[1:2]
	v_fma_f64 v[64:65], v[70:71], s[0:1], -v[96:97]
	v_add_f64 v[60:61], v[62:63], v[60:61]
	v_fma_f64 v[62:63], v[72:73], s[6:7], -v[98:99]
	v_add_f64 v[52:53], v[64:65], v[52:53]
	v_fma_f64 v[64:65], v[72:73], s[6:7], v[98:99]
	v_add_f64 v[54:55], v[62:63], v[54:55]
	v_fma_f64 v[62:63], v[74:75], s[6:7], v[124:125]
	v_add_f64 v[1:2], v[64:65], v[1:2]
	v_fma_f64 v[64:65], v[74:75], s[6:7], -v[124:125]
	v_mul_f64 v[124:125], v[106:107], s[28:29]
	v_add_f64 v[60:61], v[62:63], v[60:61]
	v_fma_f64 v[62:63], v[76:77], s[16:17], -v[126:127]
	v_add_f64 v[52:53], v[64:65], v[52:53]
	v_fma_f64 v[64:65], v[76:77], s[16:17], v[126:127]
	v_fma_f64 v[66:67], v[68:69], s[24:25], -v[124:125]
	v_mul_f64 v[126:127], v[104:105], s[28:29]
	v_add_f64 v[54:55], v[62:63], v[54:55]
	v_fma_f64 v[62:63], v[78:79], s[16:17], v[128:129]
	v_add_f64 v[1:2], v[64:65], v[1:2]
	v_fma_f64 v[64:65], v[78:79], s[16:17], -v[128:129]
	v_mul_f64 v[128:129], v[102:103], s[36:37]
	v_add_f64 v[62:63], v[62:63], v[60:61]
	v_fma_f64 v[60:61], v[90:91], s[24:25], -v[140:141]
	v_add_f64 v[52:53], v[64:65], v[52:53]
	v_fma_f64 v[64:65], v[90:91], s[24:25], v[140:141]
	v_mul_f64 v[140:141], v[86:87], s[34:35]
	v_add_f64 v[60:61], v[60:61], v[54:55]
	v_mul_f64 v[54:55], v[92:93], s[28:29]
	v_add_f64 v[96:97], v[64:65], v[1:2]
	v_mul_f64 v[1:2], v[110:111], s[18:19]
	v_fma_f64 v[156:157], v[84:85], s[24:25], v[54:55]
	v_fma_f64 v[54:55], v[84:85], s[24:25], -v[54:55]
	v_add_f64 v[62:63], v[156:157], v[62:63]
	v_add_f64 v[98:99], v[54:55], v[52:53]
	v_fma_f64 v[52:53], v[80:81], s[6:7], -v[1:2]
	v_mul_f64 v[54:55], v[108:109], s[18:19]
	v_fma_f64 v[1:2], v[80:81], s[6:7], v[1:2]
	v_add_f64 v[52:53], v[52:53], v[142:143]
	v_fma_f64 v[64:65], v[82:83], s[6:7], v[54:55]
	v_add_f64 v[1:2], v[1:2], v[3:4]
	v_fma_f64 v[3:4], v[82:83], s[6:7], -v[54:55]
	v_fma_f64 v[54:55], v[68:69], s[24:25], v[124:125]
	v_mul_f64 v[142:143], v[94:95], s[22:23]
	v_add_f64 v[52:53], v[66:67], v[52:53]
	v_add_f64 v[64:65], v[64:65], v[132:133]
	v_fma_f64 v[66:67], v[70:71], s[24:25], v[126:127]
	v_mul_f64 v[132:133], v[88:89], s[34:35]
	v_add_f64 v[3:4], v[3:4], v[144:145]
	v_add_f64 v[1:2], v[54:55], v[1:2]
	v_fma_f64 v[54:55], v[70:71], s[24:25], -v[126:127]
	v_mul_f64 v[126:127], v[108:109], s[28:29]
	v_add_f64 v[64:65], v[66:67], v[64:65]
	v_fma_f64 v[66:67], v[72:73], s[16:17], -v[128:129]
	v_add_f64 v[3:4], v[54:55], v[3:4]
	v_fma_f64 v[54:55], v[72:73], s[16:17], v[128:129]
	v_mul_f64 v[128:129], v[106:107], s[38:39]
	v_add_f64 v[52:53], v[66:67], v[52:53]
	v_fma_f64 v[66:67], v[74:75], s[16:17], v[130:131]
	v_add_f64 v[1:2], v[54:55], v[1:2]
	v_fma_f64 v[54:55], v[74:75], s[16:17], -v[130:131]
	v_fma_f64 v[130:131], v[68:69], s[6:7], -v[128:129]
	v_add_f64 v[64:65], v[66:67], v[64:65]
	v_fma_f64 v[66:67], v[76:77], s[0:1], -v[132:133]
	v_add_f64 v[3:4], v[54:55], v[3:4]
	v_fma_f64 v[54:55], v[76:77], s[0:1], v[132:133]
	v_add_f64 v[52:53], v[66:67], v[52:53]
	v_fma_f64 v[66:67], v[78:79], s[0:1], v[140:141]
	v_add_f64 v[1:2], v[54:55], v[1:2]
	v_fma_f64 v[54:55], v[78:79], s[0:1], -v[140:141]
	v_add_f64 v[66:67], v[66:67], v[64:65]
	v_fma_f64 v[64:65], v[90:91], s[14:15], -v[142:143]
	v_add_f64 v[3:4], v[54:55], v[3:4]
	v_fma_f64 v[54:55], v[90:91], s[14:15], v[142:143]
	v_add_f64 v[64:65], v[64:65], v[52:53]
	v_mul_f64 v[52:53], v[92:93], s[22:23]
	v_fma_f64 v[124:125], v[84:85], s[14:15], -v[52:53]
	v_fma_f64 v[156:157], v[84:85], s[14:15], v[52:53]
	v_add_f64 v[52:53], v[54:55], v[1:2]
	v_add_f64 v[54:55], v[124:125], v[3:4]
	v_mul_f64 v[124:125], v[110:111], s[28:29]
	v_fma_f64 v[3:4], v[82:83], s[24:25], v[126:127]
	v_add_f64 v[66:67], v[156:157], v[66:67]
	s_mov_b32 s29, 0x3fea55e2
	v_fma_f64 v[1:2], v[80:81], s[24:25], -v[124:125]
	v_add_f64 v[3:4], v[3:4], v[134:135]
	v_fma_f64 v[124:125], v[80:81], s[24:25], v[124:125]
	v_add_f64 v[1:2], v[1:2], v[146:147]
	v_add_f64 v[5:6], v[124:125], v[5:6]
	v_fma_f64 v[124:125], v[82:83], s[24:25], -v[126:127]
	v_fma_f64 v[126:127], v[68:69], s[6:7], v[128:129]
	v_add_f64 v[1:2], v[130:131], v[1:2]
	v_mul_f64 v[130:131], v[104:105], s[38:39]
	v_add_f64 v[124:125], v[124:125], v[148:149]
	v_add_f64 v[5:6], v[126:127], v[5:6]
	v_fma_f64 v[132:133], v[70:71], s[6:7], v[130:131]
	v_fma_f64 v[126:127], v[70:71], s[6:7], -v[130:131]
	v_add_f64 v[3:4], v[132:133], v[3:4]
	v_mul_f64 v[132:133], v[102:103], s[22:23]
	v_add_f64 v[124:125], v[126:127], v[124:125]
	v_fma_f64 v[134:135], v[72:73], s[14:15], -v[132:133]
	v_fma_f64 v[126:127], v[72:73], s[14:15], v[132:133]
	v_mul_f64 v[132:133], v[108:109], s[36:37]
	v_add_f64 v[1:2], v[134:135], v[1:2]
	v_mul_f64 v[134:135], v[100:101], s[22:23]
	v_add_f64 v[5:6], v[126:127], v[5:6]
	v_fma_f64 v[130:131], v[82:83], s[16:17], v[132:133]
	v_fma_f64 v[140:141], v[74:75], s[14:15], v[134:135]
	v_fma_f64 v[126:127], v[74:75], s[14:15], -v[134:135]
	v_mul_f64 v[134:135], v[106:107], s[22:23]
	v_add_f64 v[130:131], v[130:131], v[136:137]
	v_add_f64 v[3:4], v[140:141], v[3:4]
	v_mul_f64 v[140:141], v[88:89], s[26:27]
	v_add_f64 v[124:125], v[126:127], v[124:125]
	v_fma_f64 v[136:137], v[68:69], s[14:15], -v[134:135]
	v_fma_f64 v[142:143], v[76:77], s[12:13], -v[140:141]
	v_fma_f64 v[126:127], v[76:77], s[12:13], v[140:141]
	v_add_f64 v[1:2], v[142:143], v[1:2]
	v_mul_f64 v[142:143], v[86:87], s[26:27]
	v_add_f64 v[5:6], v[126:127], v[5:6]
	v_fma_f64 v[144:145], v[78:79], s[12:13], v[142:143]
	v_fma_f64 v[126:127], v[78:79], s[12:13], -v[142:143]
	v_add_f64 v[3:4], v[144:145], v[3:4]
	v_mul_f64 v[144:145], v[94:95], s[20:21]
	v_add_f64 v[126:127], v[126:127], v[124:125]
	v_fma_f64 v[146:147], v[90:91], s[16:17], -v[144:145]
	v_fma_f64 v[124:125], v[90:91], s[16:17], v[144:145]
	v_add_f64 v[1:2], v[146:147], v[1:2]
	v_mul_f64 v[146:147], v[92:93], s[20:21]
	v_add_f64 v[124:125], v[124:125], v[5:6]
	v_mul_f64 v[5:6], v[110:111], s[36:37]
	v_fma_f64 v[128:129], v[84:85], s[16:17], -v[146:147]
	v_fma_f64 v[156:157], v[84:85], s[16:17], v[146:147]
	v_add_f64 v[126:127], v[128:129], v[126:127]
	v_fma_f64 v[128:129], v[80:81], s[16:17], -v[5:6]
	v_fma_f64 v[5:6], v[80:81], s[16:17], v[5:6]
	v_add_f64 v[3:4], v[156:157], v[3:4]
	v_add_f64 v[128:129], v[128:129], v[150:151]
	;; [unrolled: 1-line block ×3, first 2 shown]
	v_fma_f64 v[10:11], v[82:83], s[16:17], -v[132:133]
	v_fma_f64 v[132:133], v[68:69], s[14:15], v[134:135]
	v_add_f64 v[128:129], v[136:137], v[128:129]
	v_mul_f64 v[136:137], v[104:105], s[22:23]
	v_add_f64 v[10:11], v[10:11], v[152:153]
	v_add_f64 v[5:6], v[132:133], v[5:6]
	v_mul_f64 v[152:153], v[86:87], s[22:23]
	v_fma_f64 v[140:141], v[70:71], s[14:15], v[136:137]
	v_fma_f64 v[132:133], v[70:71], s[14:15], -v[136:137]
	v_add_f64 v[130:131], v[140:141], v[130:131]
	v_mul_f64 v[140:141], v[102:103], s[30:31]
	v_add_f64 v[10:11], v[132:133], v[10:11]
	v_fma_f64 v[142:143], v[72:73], s[0:1], -v[140:141]
	v_fma_f64 v[132:133], v[72:73], s[0:1], v[140:141]
	v_mul_f64 v[140:141], v[108:109], s[34:35]
	v_mul_f64 v[108:109], v[108:109], s[22:23]
	v_add_f64 v[128:129], v[142:143], v[128:129]
	v_mul_f64 v[142:143], v[100:101], s[30:31]
	s_mov_b32 s31, 0x3fcea1e5
	s_mov_b32 s30, s28
	v_add_f64 v[5:6], v[132:133], v[5:6]
	s_mov_b32 s28, s26
	v_fma_f64 v[136:137], v[82:83], s[0:1], v[140:141]
	v_fma_f64 v[144:145], v[74:75], s[0:1], v[142:143]
	v_fma_f64 v[132:133], v[74:75], s[0:1], -v[142:143]
	v_mul_f64 v[142:143], v[106:107], s[26:27]
	v_mul_f64 v[106:107], v[106:107], s[20:21]
	v_add_f64 v[136:137], v[136:137], v[138:139]
	v_add_f64 v[130:131], v[144:145], v[130:131]
	v_mul_f64 v[144:145], v[88:89], s[30:31]
	v_add_f64 v[10:11], v[132:133], v[10:11]
	v_fma_f64 v[138:139], v[68:69], s[12:13], -v[142:143]
	v_fma_f64 v[146:147], v[76:77], s[24:25], -v[144:145]
	v_fma_f64 v[132:133], v[76:77], s[24:25], v[144:145]
	v_mul_f64 v[144:145], v[104:105], s[26:27]
	v_mul_f64 v[104:105], v[104:105], s[20:21]
	v_add_f64 v[128:129], v[146:147], v[128:129]
	v_mul_f64 v[146:147], v[86:87], s[30:31]
	v_add_f64 v[5:6], v[132:133], v[5:6]
	v_fma_f64 v[148:149], v[78:79], s[24:25], v[146:147]
	v_fma_f64 v[132:133], v[78:79], s[24:25], -v[146:147]
	v_mul_f64 v[146:147], v[102:103], s[30:31]
	v_mul_f64 v[102:103], v[102:103], s[28:29]
	v_add_f64 v[130:131], v[148:149], v[130:131]
	v_mul_f64 v[148:149], v[94:95], s[28:29]
	v_add_f64 v[10:11], v[132:133], v[10:11]
	v_fma_f64 v[150:151], v[90:91], s[12:13], -v[148:149]
	v_fma_f64 v[132:133], v[90:91], s[12:13], v[148:149]
	v_mul_f64 v[148:149], v[100:101], s[30:31]
	v_mul_f64 v[100:101], v[100:101], s[28:29]
	v_add_f64 v[128:129], v[150:151], v[128:129]
	v_mul_f64 v[150:151], v[92:93], s[28:29]
	v_add_f64 v[132:133], v[132:133], v[5:6]
	v_mul_f64 v[5:6], v[110:111], s[34:35]
	v_fma_f64 v[134:135], v[84:85], s[12:13], -v[150:151]
	v_fma_f64 v[156:157], v[84:85], s[12:13], v[150:151]
	v_mul_f64 v[150:151], v[88:89], s[22:23]
	v_add_f64 v[134:135], v[134:135], v[10:11]
	v_fma_f64 v[10:11], v[80:81], s[0:1], -v[5:6]
	v_fma_f64 v[5:6], v[80:81], s[0:1], v[5:6]
	v_add_f64 v[130:131], v[156:157], v[130:131]
	v_add_f64 v[10:11], v[10:11], v[154:155]
	;; [unrolled: 1-line block ×3, first 2 shown]
	v_fma_f64 v[122:123], v[82:83], s[0:1], -v[140:141]
	v_mul_f64 v[154:155], v[94:95], s[18:19]
	v_mul_f64 v[94:95], v[94:95], s[34:35]
	v_add_f64 v[10:11], v[138:139], v[10:11]
	v_fma_f64 v[138:139], v[70:71], s[12:13], v[144:145]
	v_add_f64 v[120:121], v[122:123], v[120:121]
	v_fma_f64 v[122:123], v[68:69], s[12:13], v[142:143]
	v_add_f64 v[136:137], v[138:139], v[136:137]
	v_fma_f64 v[138:139], v[72:73], s[24:25], -v[146:147]
	v_add_f64 v[5:6], v[122:123], v[5:6]
	v_fma_f64 v[122:123], v[70:71], s[12:13], -v[144:145]
	v_add_f64 v[10:11], v[138:139], v[10:11]
	v_fma_f64 v[138:139], v[74:75], s[24:25], v[148:149]
	v_add_f64 v[120:121], v[122:123], v[120:121]
	v_fma_f64 v[122:123], v[72:73], s[24:25], v[146:147]
	v_add_f64 v[136:137], v[138:139], v[136:137]
	v_fma_f64 v[138:139], v[76:77], s[14:15], -v[150:151]
	v_add_f64 v[5:6], v[122:123], v[5:6]
	v_fma_f64 v[122:123], v[74:75], s[24:25], -v[148:149]
	;; [unrolled: 8-line block ×3, first 2 shown]
	v_add_f64 v[136:137], v[136:137], v[10:11]
	v_mul_f64 v[10:11], v[92:93], s[18:19]
	v_add_f64 v[122:123], v[122:123], v[120:121]
	v_fma_f64 v[120:121], v[90:91], s[6:7], v[154:155]
	v_mul_f64 v[92:93], v[92:93], s[34:35]
	v_fma_f64 v[156:157], v[84:85], s[6:7], v[10:11]
	v_fma_f64 v[10:11], v[84:85], s[6:7], -v[10:11]
	v_add_f64 v[120:121], v[120:121], v[5:6]
	v_mul_f64 v[5:6], v[110:111], s[22:23]
	v_fma_f64 v[110:111], v[82:83], s[14:15], v[108:109]
	v_add_f64 v[138:139], v[156:157], v[138:139]
	v_add_f64 v[122:123], v[10:11], v[122:123]
	v_fma_f64 v[10:11], v[80:81], s[14:15], -v[5:6]
	v_add_f64 v[110:111], v[110:111], v[116:117]
	v_fma_f64 v[116:117], v[68:69], s[16:17], -v[106:107]
	v_fma_f64 v[5:6], v[80:81], s[14:15], v[5:6]
	v_fma_f64 v[68:69], v[68:69], s[16:17], v[106:107]
	v_add_f64 v[10:11], v[10:11], v[118:119]
	v_mul_f64 v[118:119], v[86:87], s[18:19]
	v_add_f64 v[5:6], v[5:6], v[112:113]
	v_add_f64 v[10:11], v[116:117], v[10:11]
	v_fma_f64 v[116:117], v[70:71], s[16:17], v[104:105]
	v_fma_f64 v[86:87], v[78:79], s[6:7], v[118:119]
	v_fma_f64 v[70:71], v[70:71], s[16:17], -v[104:105]
	v_add_f64 v[5:6], v[68:69], v[5:6]
	v_add_f64 v[110:111], v[116:117], v[110:111]
	v_fma_f64 v[116:117], v[72:73], s[12:13], -v[102:103]
	v_fma_f64 v[72:73], v[72:73], s[12:13], v[102:103]
	v_add_f64 v[10:11], v[116:117], v[10:11]
	v_fma_f64 v[116:117], v[74:75], s[12:13], v[100:101]
	v_fma_f64 v[74:75], v[74:75], s[12:13], -v[100:101]
	v_add_f64 v[5:6], v[72:73], v[5:6]
	v_fma_f64 v[72:73], v[90:91], s[0:1], v[94:95]
	v_add_f64 v[110:111], v[116:117], v[110:111]
	v_mul_f64 v[116:117], v[88:89], s[18:19]
	v_fma_f64 v[88:89], v[76:77], s[6:7], -v[116:117]
	v_fma_f64 v[68:69], v[76:77], s[6:7], v[116:117]
	v_add_f64 v[10:11], v[88:89], v[10:11]
	v_add_f64 v[88:89], v[86:87], v[110:111]
	v_fma_f64 v[86:87], v[90:91], s[0:1], -v[94:95]
	v_add_f64 v[5:6], v[68:69], v[5:6]
	v_add_f64 v[86:87], v[86:87], v[10:11]
	v_fma_f64 v[10:11], v[84:85], s[0:1], v[92:93]
	v_add_f64 v[68:69], v[72:73], v[5:6]
	v_mul_lo_u16 v5, v0, 13
	v_and_b32_e32 v5, 0xffff, v5
	v_lshl_add_u32 v232, v5, 4, v7
	v_add_f64 v[88:89], v[10:11], v[88:89]
	v_fma_f64 v[10:11], v[82:83], s[14:15], -v[108:109]
	v_add_f64 v[10:11], v[10:11], v[114:115]
	v_add_f64 v[10:11], v[70:71], v[10:11]
	v_fma_f64 v[70:71], v[78:79], s[6:7], -v[118:119]
	v_add_f64 v[10:11], v[74:75], v[10:11]
	v_fma_f64 v[74:75], v[84:85], s[0:1], -v[92:93]
	v_add_f64 v[10:11], v[70:71], v[10:11]
	v_add_f64 v[70:71], v[74:75], v[10:11]
	ds_write_b128 v232, v[60:63] offset:16
	ds_write_b128 v232, v[64:67] offset:32
	;; [unrolled: 1-line block ×12, first 2 shown]
	ds_write_b128 v232, v[56:59]
	s_waitcnt lgkmcnt(0)
	s_barrier
	buffer_gl0_inv
	ds_read_b128 v[104:107], v255
	ds_read_b128 v[100:103], v255 offset:1248
	ds_read_b128 v[144:147], v255 offset:2704
	;; [unrolled: 1-line block ×11, first 2 shown]
	s_and_saveexec_b32 s0, vcc_lo
	s_cbranch_execz .LBB0_3
; %bb.2:
	ds_read_b128 v[96:99], v255 offset:2496
	ds_read_b128 v[164:167], v255 offset:5200
	;; [unrolled: 1-line block ×6, first 2 shown]
.LBB0_3:
	s_or_b32 exec_lo, exec_lo, s0
	v_and_b32_e32 v0, 0xff, v13
	v_add_nc_u16 v1, v13, 0x4e
	v_add_nc_u16 v3, v13, 0x9c
	s_mov_b32 s6, 0xe8584caa
	s_mov_b32 s7, 0x3febb67a
	v_mul_lo_u16 v0, 0x4f, v0
	v_and_b32_e32 v2, 0xff, v1
	v_and_b32_e32 v5, 0xff, v3
	s_mov_b32 s1, 0xbfebb67a
	s_mov_b32 s0, s6
	v_lshrrev_b16 v4, 10, v0
	v_mul_lo_u16 v0, 0x4f, v2
	v_mul_lo_u16 v2, v4, 13
	v_lshrrev_b16 v6, 10, v0
	v_sub_nc_u16 v0, v13, v2
	v_mul_lo_u16 v2, 0x4f, v5
	v_mul_lo_u16 v5, v6, 13
	v_and_b32_e32 v7, 0xff, v0
	v_lshrrev_b16 v2, 10, v2
	v_sub_nc_u16 v5, v1, v5
	v_mad_u64_u32 v[0:1], null, 0x50, v7, s[2:3]
	v_mul_lo_u16 v2, v2, 13
	v_and_b32_e32 v10, 0xff, v5
	v_sub_nc_u16 v5, v3, v2
	v_mad_u64_u32 v[2:3], null, 0x50, v10, s[2:3]
	s_clause 0x2
	global_load_dwordx4 v[72:75], v[0:1], off
	global_load_dwordx4 v[80:83], v[0:1], off offset:16
	global_load_dwordx4 v[132:135], v[0:1], off offset:32
	v_and_b32_e32 v5, 0xff, v5
	s_clause 0x2
	global_load_dwordx4 v[92:95], v[0:1], off offset:48
	global_load_dwordx4 v[136:139], v[0:1], off offset:64
	global_load_dwordx4 v[76:79], v[2:3], off
	v_mad_u64_u32 v[0:1], null, 0x50, v5, s[2:3]
	buffer_store_dword v5, off, s[48:51], 0 offset:160 ; 4-byte Folded Spill
	s_clause 0x8
	global_load_dwordx4 v[88:91], v[2:3], off offset:16
	global_load_dwordx4 v[120:123], v[2:3], off offset:32
	;; [unrolled: 1-line block ×4, first 2 shown]
	global_load_dwordx4 v[60:63], v[0:1], off
	global_load_dwordx4 v[52:55], v[0:1], off offset:16
	global_load_dwordx4 v[64:67], v[0:1], off offset:32
	;; [unrolled: 1-line block ×4, first 2 shown]
	buffer_load_dword v14, off, s[48:51], 0 ; 4-byte Folded Reload
	v_mov_b32_e32 v0, 0x4e
	s_waitcnt vmcnt(0) lgkmcnt(0)
	s_waitcnt_vscnt null, 0x0
	s_barrier
	buffer_gl0_inv
	v_mul_u32_u24_sdwa v1, v4, v0 dst_sel:DWORD dst_unused:UNUSED_PAD src0_sel:WORD_0 src1_sel:DWORD
	v_mul_u32_u24_sdwa v11, v6, v0 dst_sel:DWORD dst_unused:UNUSED_PAD src0_sel:WORD_0 src1_sel:DWORD
	v_add_nc_u32_e32 v12, v1, v7
	v_add_nc_u32_e32 v10, v11, v10
	v_mul_f64 v[4:5], v[150:151], v[82:83]
	v_mul_f64 v[0:1], v[146:147], v[74:75]
	;; [unrolled: 1-line block ×28, first 2 shown]
	v_fma_f64 v[0:1], v[144:145], v[72:73], -v[0:1]
	v_fma_f64 v[2:3], v[146:147], v[72:73], v[2:3]
	v_fma_f64 v[4:5], v[148:149], v[80:81], -v[4:5]
	v_fma_f64 v[6:7], v[150:151], v[80:81], v[6:7]
	;; [unrolled: 2-line block ×10, first 2 shown]
	v_mul_f64 v[230:231], v[178:179], v[58:59]
	v_mul_f64 v[233:234], v[176:177], v[58:59]
	v_fma_f64 v[108:109], v[108:109], v[76:77], -v[196:197]
	v_fma_f64 v[110:111], v[110:111], v[76:77], v[198:199]
	v_fma_f64 v[112:113], v[112:113], v[88:89], -v[202:203]
	v_fma_f64 v[114:115], v[114:115], v[88:89], v[204:205]
	;; [unrolled: 2-line block ×4, first 2 shown]
	v_add_f64 v[186:187], v[144:145], v[152:153]
	v_add_f64 v[188:189], v[146:147], v[154:155]
	v_add_f64 v[190:191], v[146:147], -v[154:155]
	v_add_f64 v[146:147], v[2:3], v[146:147]
	v_add_f64 v[204:205], v[116:117], v[140:141]
	;; [unrolled: 1-line block ×3, first 2 shown]
	v_add_f64 v[180:181], v[6:7], -v[150:151]
	v_add_f64 v[182:183], v[106:107], v[6:7]
	v_add_f64 v[6:7], v[6:7], v[150:151]
	v_add_f64 v[184:185], v[4:5], -v[148:149]
	v_add_f64 v[212:213], v[164:165], v[172:173]
	v_add_f64 v[210:211], v[166:167], v[174:175]
	v_fma_f64 v[168:169], v[176:177], v[56:57], -v[230:231]
	v_fma_f64 v[170:171], v[178:179], v[56:57], v[233:234]
	v_add_f64 v[176:177], v[104:105], v[4:5]
	v_add_f64 v[178:179], v[4:5], v[148:149]
	;; [unrolled: 1-line block ×3, first 2 shown]
	v_add_f64 v[144:145], v[144:145], -v[152:153]
	v_add_f64 v[192:193], v[100:101], v[112:113]
	v_add_f64 v[194:195], v[112:113], v[128:129]
	;; [unrolled: 1-line block ×3, first 2 shown]
	v_add_f64 v[208:209], v[118:119], -v[142:143]
	v_add_f64 v[118:119], v[110:111], v[118:119]
	v_add_f64 v[116:117], v[116:117], -v[140:141]
	v_add_f64 v[214:215], v[96:97], v[160:161]
	v_add_f64 v[220:221], v[98:99], v[162:163]
	v_fma_f64 v[2:3], v[188:189], -0.5, v[2:3]
	v_fma_f64 v[0:1], v[186:187], -0.5, v[0:1]
	v_add_f64 v[186:187], v[156:157], v[164:165]
	v_add_f64 v[188:189], v[166:167], -v[174:175]
	v_add_f64 v[166:167], v[158:159], v[166:167]
	v_add_f64 v[164:165], v[164:165], -v[172:173]
	v_fma_f64 v[110:111], v[202:203], -0.5, v[110:111]
	v_fma_f64 v[108:109], v[204:205], -0.5, v[108:109]
	v_add_f64 v[146:147], v[146:147], v[154:155]
	v_fma_f64 v[154:155], v[210:211], -0.5, v[158:159]
	v_fma_f64 v[156:157], v[212:213], -0.5, v[156:157]
	v_add_f64 v[196:197], v[114:115], -v[130:131]
	v_add_f64 v[198:199], v[102:103], v[114:115]
	v_add_f64 v[114:115], v[114:115], v[130:131]
	v_add_f64 v[112:113], v[112:113], -v[128:129]
	v_add_f64 v[216:217], v[160:161], v[168:169]
	v_add_f64 v[218:219], v[162:163], -v[170:171]
	v_add_f64 v[162:163], v[162:163], v[170:171]
	v_add_f64 v[160:161], v[160:161], -v[168:169]
	v_add_f64 v[148:149], v[176:177], v[148:149]
	v_fma_f64 v[104:105], v[178:179], -0.5, v[104:105]
	v_add_f64 v[150:151], v[182:183], v[150:151]
	v_fma_f64 v[106:107], v[6:7], -0.5, v[106:107]
	v_add_f64 v[152:153], v[4:5], v[152:153]
	v_add_f64 v[128:129], v[192:193], v[128:129]
	v_fma_f64 v[158:159], v[194:195], -0.5, v[100:101]
	v_fma_f64 v[176:177], v[144:145], s[0:1], v[2:3]
	v_fma_f64 v[178:179], v[190:191], s[0:1], v[0:1]
	;; [unrolled: 1-line block ×4, first 2 shown]
	v_add_f64 v[0:1], v[214:215], v[168:169]
	v_fma_f64 v[168:169], v[116:117], s[0:1], v[110:111]
	v_fma_f64 v[190:191], v[208:209], s[0:1], v[108:109]
	;; [unrolled: 1-line block ×4, first 2 shown]
	v_add_f64 v[4:5], v[220:221], v[170:171]
	v_add_f64 v[6:7], v[166:167], v[174:175]
	v_fma_f64 v[166:167], v[164:165], s[0:1], v[154:155]
	v_fma_f64 v[170:171], v[188:189], s[0:1], v[156:157]
	;; [unrolled: 1-line block ×4, first 2 shown]
	v_add_f64 v[130:131], v[198:199], v[130:131]
	v_fma_f64 v[114:115], v[114:115], -0.5, v[102:103]
	v_add_f64 v[118:119], v[118:119], v[142:143]
	v_fma_f64 v[142:143], v[216:217], -0.5, v[96:97]
	v_fma_f64 v[162:163], v[162:163], -0.5, v[98:99]
	v_add_f64 v[2:3], v[186:187], v[172:173]
	v_fma_f64 v[172:173], v[180:181], s[6:7], v[104:105]
	v_fma_f64 v[174:175], v[180:181], s[0:1], v[104:105]
	v_mul_f64 v[104:105], v[176:177], s[6:7]
	v_mul_f64 v[108:109], v[178:179], -0.5
	v_mul_f64 v[110:111], v[182:183], s[0:1]
	v_mul_f64 v[164:165], v[144:145], -0.5
	v_add_f64 v[96:97], v[148:149], v[152:153]
	v_add_f64 v[98:99], v[150:151], v[146:147]
	v_mul_f64 v[186:187], v[168:169], s[6:7]
	v_mul_f64 v[188:189], v[190:191], -0.5
	v_mul_f64 v[194:195], v[192:193], s[0:1]
	v_mul_f64 v[198:199], v[116:117], -0.5
	v_add_f64 v[100:101], v[148:149], -v[152:153]
	v_add_f64 v[102:103], v[150:151], -v[146:147]
	v_fma_f64 v[152:153], v[196:197], s[6:7], v[158:159]
	v_fma_f64 v[158:159], v[196:197], s[0:1], v[158:159]
	v_mul_f64 v[146:147], v[166:167], s[6:7]
	v_mul_f64 v[148:149], v[170:171], -0.5
	v_mul_f64 v[150:151], v[156:157], s[0:1]
	v_mul_f64 v[196:197], v[154:155], -0.5
	v_add_f64 v[140:141], v[206:207], v[140:141]
	v_fma_f64 v[180:181], v[184:185], s[0:1], v[106:107]
	v_fma_f64 v[184:185], v[184:185], s[6:7], v[106:107]
	;; [unrolled: 1-line block ×3, first 2 shown]
	v_fma_f64 v[182:183], v[182:183], 0.5, v[104:105]
	v_fma_f64 v[144:145], v[144:145], s[6:7], v[108:109]
	v_fma_f64 v[176:177], v[176:177], 0.5, v[110:111]
	v_fma_f64 v[178:179], v[178:179], s[0:1], v[164:165]
	v_fma_f64 v[208:209], v[160:161], s[6:7], v[162:163]
	;; [unrolled: 1-line block ×3, first 2 shown]
	v_fma_f64 v[186:187], v[192:193], 0.5, v[186:187]
	v_fma_f64 v[188:189], v[116:117], s[6:7], v[188:189]
	v_fma_f64 v[192:193], v[168:169], 0.5, v[194:195]
	v_fma_f64 v[190:191], v[190:191], s[0:1], v[198:199]
	v_fma_f64 v[194:195], v[218:219], s[6:7], v[142:143]
	;; [unrolled: 1-line block ×4, first 2 shown]
	v_add_f64 v[106:107], v[130:131], v[118:119]
	v_fma_f64 v[210:211], v[156:157], 0.5, v[146:147]
	v_fma_f64 v[212:213], v[154:155], s[6:7], v[148:149]
	v_fma_f64 v[214:215], v[166:167], 0.5, v[150:151]
	v_fma_f64 v[196:197], v[170:171], s[0:1], v[196:197]
	v_add_f64 v[104:105], v[128:129], v[140:141]
	v_add_f64 v[108:109], v[128:129], -v[140:141]
	v_add_f64 v[110:111], v[130:131], -v[118:119]
	;; [unrolled: 1-line block ×4, first 2 shown]
	v_add_f64 v[112:113], v[172:173], v[182:183]
	v_add_f64 v[116:117], v[174:175], v[144:145]
	;; [unrolled: 1-line block ×4, first 2 shown]
	v_add_f64 v[128:129], v[172:173], -v[182:183]
	v_add_f64 v[140:141], v[174:175], -v[144:145]
	;; [unrolled: 1-line block ×4, first 2 shown]
	v_add_f64 v[148:149], v[158:159], v[188:189]
	v_add_f64 v[168:169], v[158:159], -v[188:189]
	v_add_f64 v[144:145], v[152:153], v[186:187]
	v_add_f64 v[146:147], v[202:203], v[192:193]
	;; [unrolled: 1-line block ×7, first 2 shown]
	v_add_f64 v[172:173], v[194:195], -v[210:211]
	v_add_f64 v[176:177], v[198:199], -v[212:213]
	;; [unrolled: 1-line block ×7, first 2 shown]
	v_lshl_add_u32 v11, v12, 4, v14
	v_lshl_add_u32 v10, v10, 4, v14
	ds_write_b128 v11, v[96:99]
	ds_write_b128 v11, v[100:103] offset:624
	ds_write_b128 v11, v[112:115] offset:208
	;; [unrolled: 1-line block ×5, first 2 shown]
	ds_write_b128 v10, v[104:107]
	ds_write_b128 v10, v[108:111] offset:624
	ds_write_b128 v10, v[144:147] offset:208
	;; [unrolled: 1-line block ×5, first 2 shown]
	s_and_saveexec_b32 s0, vcc_lo
	s_cbranch_execz .LBB0_5
; %bb.4:
	v_add_f64 v[2:3], v[0:1], v[2:3]
	s_clause 0x1
	buffer_load_dword v0, off, s[48:51], 0
	buffer_load_dword v1, off, s[48:51], 0 offset:160
	v_add_f64 v[4:5], v[4:5], v[6:7]
	s_waitcnt vmcnt(0)
	v_lshl_add_u32 v0, v1, 4, v0
	ds_write_b128 v0, v[156:159] offset:15184
	ds_write_b128 v0, v[160:163] offset:15392
	;; [unrolled: 1-line block ×6, first 2 shown]
.LBB0_5:
	s_or_b32 exec_lo, exec_lo, s0
	v_mad_u64_u32 v[212:213], null, 0xc0, v13, s[2:3]
	s_waitcnt lgkmcnt(0)
	s_barrier
	buffer_gl0_inv
	ds_read_b128 v[184:187], v255
	ds_read_b128 v[0:3], v255 offset:1248
	ds_read_b128 v[4:7], v255 offset:2496
	;; [unrolled: 1-line block ×12, first 2 shown]
	buffer_store_dword v13, off, s[48:51], 0 offset:12 ; 4-byte Folded Spill
	s_mov_b32 s24, 0x4267c47c
	s_clause 0x3
	global_load_dwordx4 v[96:99], v[212:213], off offset:1088
	global_load_dwordx4 v[100:103], v[212:213], off offset:1072
	;; [unrolled: 1-line block ×4, first 2 shown]
	s_mov_b32 s18, 0x42a4c3d2
	s_mov_b32 s6, 0x66966769
	;; [unrolled: 1-line block ×33, first 2 shown]
	s_waitcnt vmcnt(0) lgkmcnt(11)
	v_mul_f64 v[116:117], v[2:3], v[142:143]
	v_fma_f64 v[230:231], v[0:1], v[140:141], -v[116:117]
	v_mul_f64 v[0:1], v[0:1], v[142:143]
	v_fma_f64 v[0:1], v[2:3], v[140:141], v[0:1]
	s_waitcnt lgkmcnt(10)
	v_mul_f64 v[2:3], v[6:7], v[106:107]
	v_fma_f64 v[222:223], v[4:5], v[104:105], -v[2:3]
	v_mul_f64 v[2:3], v[4:5], v[106:107]
	v_fma_f64 v[220:221], v[6:7], v[104:105], v[2:3]
	s_waitcnt lgkmcnt(9)
	v_mul_f64 v[2:3], v[110:111], v[102:103]
	v_add_f64 v[6:7], v[184:185], v[230:231]
	v_fma_f64 v[216:217], v[108:109], v[100:101], -v[2:3]
	v_mul_f64 v[2:3], v[108:109], v[102:103]
	v_add_f64 v[6:7], v[6:7], v[222:223]
	v_fma_f64 v[210:211], v[110:111], v[100:101], v[2:3]
	s_waitcnt lgkmcnt(8)
	v_mul_f64 v[2:3], v[114:115], v[98:99]
	v_add_f64 v[6:7], v[6:7], v[216:217]
	v_fma_f64 v[208:209], v[112:113], v[96:97], -v[2:3]
	v_mul_f64 v[2:3], v[112:113], v[98:99]
	v_add_f64 v[6:7], v[6:7], v[208:209]
	v_fma_f64 v[202:203], v[114:115], v[96:97], v[2:3]
	s_clause 0x3
	global_load_dwordx4 v[108:111], v[212:213], off offset:1152
	global_load_dwordx4 v[112:115], v[212:213], off offset:1136
	;; [unrolled: 1-line block ×4, first 2 shown]
	s_waitcnt vmcnt(0) lgkmcnt(7)
	v_mul_f64 v[2:3], v[146:147], v[130:131]
	v_fma_f64 v[204:205], v[144:145], v[128:129], -v[2:3]
	v_mul_f64 v[2:3], v[144:145], v[130:131]
	v_add_f64 v[6:7], v[6:7], v[204:205]
	v_fma_f64 v[196:197], v[146:147], v[128:129], v[2:3]
	s_waitcnt lgkmcnt(6)
	v_mul_f64 v[2:3], v[150:151], v[118:119]
	v_fma_f64 v[192:193], v[148:149], v[116:117], -v[2:3]
	v_mul_f64 v[2:3], v[148:149], v[118:119]
	v_add_f64 v[6:7], v[6:7], v[192:193]
	v_fma_f64 v[188:189], v[150:151], v[116:117], v[2:3]
	s_waitcnt lgkmcnt(5)
	;; [unrolled: 6-line block ×3, first 2 shown]
	v_mul_f64 v[2:3], v[170:171], v[110:111]
	v_fma_f64 v[206:207], v[168:169], v[108:109], -v[2:3]
	v_mul_f64 v[2:3], v[168:169], v[110:111]
	v_add_f64 v[6:7], v[6:7], v[206:207]
	v_fma_f64 v[198:199], v[170:171], v[108:109], v[2:3]
	s_clause 0x3
	global_load_dwordx4 v[152:155], v[212:213], off offset:1216
	global_load_dwordx4 v[148:151], v[212:213], off offset:1200
	;; [unrolled: 1-line block ×4, first 2 shown]
	s_waitcnt vmcnt(3) lgkmcnt(0)
	v_mul_f64 v[4:5], v[237:238], v[154:155]
	s_waitcnt vmcnt(0)
	v_mul_f64 v[2:3], v[182:183], v[170:171]
	v_fma_f64 v[4:5], v[239:240], v[152:153], v[4:5]
	v_fma_f64 v[214:215], v[180:181], v[168:169], -v[2:3]
	v_mul_f64 v[2:3], v[180:181], v[170:171]
	v_add_f64 v[180:181], v[186:187], v[0:1]
	v_add_f64 v[6:7], v[6:7], v[214:215]
	v_fma_f64 v[212:213], v[182:183], v[168:169], v[2:3]
	v_add_f64 v[180:181], v[180:181], v[220:221]
	v_mul_f64 v[2:3], v[228:229], v[146:147]
	v_add_f64 v[180:181], v[180:181], v[210:211]
	v_fma_f64 v[224:225], v[226:227], v[144:145], -v[2:3]
	v_mul_f64 v[2:3], v[226:227], v[146:147]
	v_add_f64 v[180:181], v[180:181], v[202:203]
	v_add_f64 v[6:7], v[6:7], v[224:225]
	v_fma_f64 v[218:219], v[228:229], v[144:145], v[2:3]
	v_mul_f64 v[2:3], v[235:236], v[150:151]
	v_add_f64 v[180:181], v[180:181], v[196:197]
	v_fma_f64 v[228:229], v[233:234], v[148:149], -v[2:3]
	v_mul_f64 v[2:3], v[233:234], v[150:151]
	v_add_f64 v[233:234], v[0:1], v[4:5]
	v_add_f64 v[0:1], v[0:1], -v[4:5]
	v_add_f64 v[180:181], v[180:181], v[188:189]
	v_add_f64 v[6:7], v[6:7], v[228:229]
	v_fma_f64 v[226:227], v[235:236], v[148:149], v[2:3]
	v_mul_f64 v[2:3], v[239:240], v[154:155]
	v_mul_f64 v[239:240], v[0:1], s[18:19]
	;; [unrolled: 1-line block ×5, first 2 shown]
	v_add_f64 v[180:181], v[180:181], v[190:191]
	v_fma_f64 v[2:3], v[237:238], v[152:153], -v[2:3]
	v_add_f64 v[180:181], v[180:181], v[198:199]
	v_add_f64 v[180:181], v[180:181], v[212:213]
	;; [unrolled: 1-line block ×6, first 2 shown]
	v_add_f64 v[2:3], v[230:231], -v[2:3]
	v_add_f64 v[182:183], v[182:183], v[4:5]
	v_mul_f64 v[4:5], v[0:1], s[24:25]
	v_mul_f64 v[0:1], v[0:1], s[30:31]
	;; [unrolled: 1-line block ×3, first 2 shown]
	v_fma_f64 v[241:242], v[6:7], s[16:17], -v[239:240]
	v_mul_f64 v[243:244], v[2:3], s[18:19]
	v_fma_f64 v[239:240], v[6:7], s[16:17], v[239:240]
	v_fma_f64 v[249:250], v[6:7], s[2:3], -v[247:248]
	v_mul_f64 v[251:252], v[2:3], s[6:7]
	v_fma_f64 v[247:248], v[6:7], s[2:3], v[247:248]
	;; [unrolled: 3-line block ×4, first 2 shown]
	v_mul_f64 v[2:3], v[2:3], s[30:31]
	v_fma_f64 v[230:231], v[6:7], s[22:23], -v[4:5]
	v_fma_f64 v[4:5], v[6:7], s[22:23], v[4:5]
	v_fma_f64 v[28:29], v[6:7], s[34:35], -v[0:1]
	v_fma_f64 v[0:1], v[6:7], s[34:35], v[0:1]
	v_fma_f64 v[237:238], v[233:234], s[22:23], v[235:236]
	v_fma_f64 v[235:236], v[233:234], s[22:23], -v[235:236]
	v_add_f64 v[241:242], v[184:185], v[241:242]
	v_fma_f64 v[245:246], v[233:234], s[16:17], v[243:244]
	v_add_f64 v[239:240], v[184:185], v[239:240]
	v_fma_f64 v[243:244], v[233:234], s[16:17], -v[243:244]
	v_add_f64 v[249:250], v[184:185], v[249:250]
	v_fma_f64 v[253:254], v[233:234], s[2:3], v[251:252]
	v_add_f64 v[247:248], v[184:185], v[247:248]
	;; [unrolled: 4-line block ×4, first 2 shown]
	v_fma_f64 v[24:25], v[233:234], s[28:29], -v[24:25]
	v_add_f64 v[230:231], v[184:185], v[230:231]
	v_add_f64 v[4:5], v[184:185], v[4:5]
	;; [unrolled: 1-line block ×3, first 2 shown]
	v_fma_f64 v[30:31], v[233:234], s[34:35], v[2:3]
	v_add_f64 v[0:1], v[184:185], v[0:1]
	v_fma_f64 v[2:3], v[233:234], s[34:35], -v[2:3]
	v_add_f64 v[184:185], v[220:221], v[226:227]
	v_add_f64 v[220:221], v[220:221], -v[226:227]
	v_add_f64 v[237:238], v[186:187], v[237:238]
	v_add_f64 v[235:236], v[186:187], v[235:236]
	;; [unrolled: 1-line block ×13, first 2 shown]
	v_add_f64 v[186:187], v[222:223], -v[228:229]
	v_mul_f64 v[222:223], v[220:221], s[18:19]
	v_mul_f64 v[228:229], v[186:187], s[18:19]
	v_fma_f64 v[226:227], v[6:7], s[16:17], -v[222:223]
	v_fma_f64 v[222:223], v[6:7], s[16:17], v[222:223]
	v_add_f64 v[226:227], v[226:227], v[230:231]
	v_fma_f64 v[230:231], v[184:185], s[16:17], v[228:229]
	v_add_f64 v[4:5], v[222:223], v[4:5]
	v_fma_f64 v[222:223], v[184:185], s[16:17], -v[228:229]
	v_mul_f64 v[228:229], v[220:221], s[12:13]
	v_add_f64 v[230:231], v[230:231], v[237:238]
	v_add_f64 v[222:223], v[222:223], v[235:236]
	v_fma_f64 v[233:234], v[6:7], s[14:15], -v[228:229]
	v_fma_f64 v[228:229], v[6:7], s[14:15], v[228:229]
	v_mul_f64 v[235:236], v[186:187], s[12:13]
	v_add_f64 v[233:234], v[233:234], v[241:242]
	v_add_f64 v[228:229], v[228:229], v[239:240]
	v_mul_f64 v[239:240], v[220:221], s[30:31]
	v_fma_f64 v[237:238], v[184:185], s[14:15], v[235:236]
	v_fma_f64 v[235:236], v[184:185], s[14:15], -v[235:236]
	v_fma_f64 v[241:242], v[6:7], s[34:35], -v[239:240]
	v_fma_f64 v[239:240], v[6:7], s[34:35], v[239:240]
	v_add_f64 v[235:236], v[235:236], v[243:244]
	v_mul_f64 v[243:244], v[186:187], s[30:31]
	v_add_f64 v[237:238], v[237:238], v[245:246]
	v_add_f64 v[241:242], v[241:242], v[249:250]
	;; [unrolled: 1-line block ×3, first 2 shown]
	v_mul_f64 v[247:248], v[220:221], s[36:37]
	v_fma_f64 v[245:246], v[184:185], s[34:35], v[243:244]
	v_fma_f64 v[243:244], v[184:185], s[34:35], -v[243:244]
	v_fma_f64 v[249:250], v[6:7], s[28:29], -v[247:248]
	v_fma_f64 v[247:248], v[6:7], s[28:29], v[247:248]
	v_add_f64 v[243:244], v[243:244], v[251:252]
	v_add_f64 v[245:246], v[245:246], v[253:254]
	;; [unrolled: 1-line block ×4, first 2 shown]
	v_mul_f64 v[249:250], v[186:187], s[36:37]
	v_add_f64 v[12:13], v[247:248], v[12:13]
	v_fma_f64 v[247:248], v[184:185], s[28:29], -v[249:250]
	v_fma_f64 v[251:252], v[184:185], s[28:29], v[249:250]
	v_add_f64 v[16:17], v[247:248], v[16:17]
	v_mul_f64 v[247:248], v[220:221], s[20:21]
	v_mul_f64 v[220:221], v[220:221], s[40:41]
	v_add_f64 v[18:19], v[251:252], v[18:19]
	v_fma_f64 v[249:250], v[6:7], s[2:3], -v[247:248]
	v_fma_f64 v[247:248], v[6:7], s[2:3], v[247:248]
	v_add_f64 v[22:23], v[249:250], v[22:23]
	v_mul_f64 v[249:250], v[186:187], s[20:21]
	v_add_f64 v[20:21], v[247:248], v[20:21]
	v_mul_f64 v[186:187], v[186:187], s[40:41]
	v_fma_f64 v[247:248], v[184:185], s[2:3], -v[249:250]
	v_fma_f64 v[251:252], v[184:185], s[2:3], v[249:250]
	v_add_f64 v[24:25], v[247:248], v[24:25]
	v_fma_f64 v[247:248], v[6:7], s[22:23], -v[220:221]
	v_fma_f64 v[6:7], v[6:7], s[22:23], v[220:221]
	v_add_f64 v[26:27], v[251:252], v[26:27]
	v_add_f64 v[251:252], v[202:203], v[212:213]
	;; [unrolled: 1-line block ×3, first 2 shown]
	v_fma_f64 v[247:248], v[184:185], s[22:23], v[186:187]
	v_add_f64 v[0:1], v[6:7], v[0:1]
	v_fma_f64 v[6:7], v[184:185], s[22:23], -v[186:187]
	v_add_f64 v[184:185], v[210:211], v[218:219]
	v_add_f64 v[210:211], v[210:211], -v[218:219]
	v_add_f64 v[186:187], v[216:217], -v[224:225]
	v_add_f64 v[30:31], v[247:248], v[30:31]
	v_add_f64 v[247:248], v[208:209], -v[214:215]
	v_add_f64 v[2:3], v[6:7], v[2:3]
	v_add_f64 v[6:7], v[216:217], v[224:225]
	v_mul_f64 v[216:217], v[210:211], s[6:7]
	v_mul_f64 v[220:221], v[186:187], s[6:7]
	v_fma_f64 v[218:219], v[6:7], s[2:3], -v[216:217]
	v_fma_f64 v[216:217], v[6:7], s[2:3], v[216:217]
	v_fma_f64 v[224:225], v[184:185], s[2:3], v[220:221]
	v_add_f64 v[218:219], v[218:219], v[226:227]
	v_add_f64 v[4:5], v[216:217], v[4:5]
	v_fma_f64 v[216:217], v[184:185], s[2:3], -v[220:221]
	v_mul_f64 v[220:221], v[210:211], s[30:31]
	v_mul_f64 v[226:227], v[186:187], s[30:31]
	v_add_f64 v[224:225], v[224:225], v[230:231]
	v_add_f64 v[216:217], v[216:217], v[222:223]
	v_fma_f64 v[222:223], v[6:7], s[34:35], -v[220:221]
	v_fma_f64 v[220:221], v[6:7], s[34:35], v[220:221]
	v_fma_f64 v[230:231], v[184:185], s[34:35], v[226:227]
	v_fma_f64 v[226:227], v[184:185], s[34:35], -v[226:227]
	v_add_f64 v[222:223], v[222:223], v[233:234]
	v_add_f64 v[220:221], v[220:221], v[228:229]
	v_mul_f64 v[228:229], v[210:211], s[38:39]
	v_add_f64 v[226:227], v[226:227], v[235:236]
	v_mul_f64 v[235:236], v[186:187], s[38:39]
	v_add_f64 v[230:231], v[230:231], v[237:238]
	v_fma_f64 v[233:234], v[6:7], s[14:15], -v[228:229]
	v_fma_f64 v[228:229], v[6:7], s[14:15], v[228:229]
	v_fma_f64 v[237:238], v[184:185], s[14:15], v[235:236]
	v_fma_f64 v[235:236], v[184:185], s[14:15], -v[235:236]
	v_add_f64 v[233:234], v[233:234], v[241:242]
	v_add_f64 v[228:229], v[228:229], v[239:240]
	v_mul_f64 v[239:240], v[210:211], s[40:41]
	v_add_f64 v[235:236], v[235:236], v[243:244]
	v_add_f64 v[237:238], v[237:238], v[245:246]
	v_add_f64 v[245:246], v[202:203], -v[212:213]
	v_fma_f64 v[241:242], v[6:7], s[22:23], -v[239:240]
	v_fma_f64 v[239:240], v[6:7], s[22:23], v[239:240]
	v_mul_f64 v[202:203], v[245:246], s[12:13]
	v_add_f64 v[14:15], v[241:242], v[14:15]
	v_mul_f64 v[241:242], v[186:187], s[40:41]
	v_add_f64 v[12:13], v[239:240], v[12:13]
	v_fma_f64 v[239:240], v[184:185], s[22:23], -v[241:242]
	v_fma_f64 v[243:244], v[184:185], s[22:23], v[241:242]
	v_add_f64 v[16:17], v[239:240], v[16:17]
	v_mul_f64 v[239:240], v[210:211], s[18:19]
	v_mul_f64 v[210:211], v[210:211], s[26:27]
	v_add_f64 v[18:19], v[243:244], v[18:19]
	v_fma_f64 v[241:242], v[6:7], s[16:17], -v[239:240]
	v_fma_f64 v[239:240], v[6:7], s[16:17], v[239:240]
	v_add_f64 v[22:23], v[241:242], v[22:23]
	v_mul_f64 v[241:242], v[186:187], s[18:19]
	v_add_f64 v[20:21], v[239:240], v[20:21]
	v_mul_f64 v[186:187], v[186:187], s[26:27]
	v_fma_f64 v[239:240], v[184:185], s[16:17], -v[241:242]
	v_fma_f64 v[243:244], v[184:185], s[16:17], v[241:242]
	v_add_f64 v[24:25], v[239:240], v[24:25]
	v_fma_f64 v[239:240], v[6:7], s[28:29], -v[210:211]
	v_fma_f64 v[6:7], v[6:7], s[28:29], v[210:211]
	v_add_f64 v[26:27], v[243:244], v[26:27]
	v_add_f64 v[28:29], v[239:240], v[28:29]
	;; [unrolled: 1-line block ×3, first 2 shown]
	v_fma_f64 v[6:7], v[184:185], s[28:29], -v[186:187]
	v_fma_f64 v[239:240], v[184:185], s[28:29], v[186:187]
	v_add_f64 v[2:3], v[6:7], v[2:3]
	v_add_f64 v[6:7], v[208:209], v[214:215]
	v_mul_f64 v[208:209], v[247:248], s[12:13]
	v_add_f64 v[30:31], v[239:240], v[30:31]
	v_fma_f64 v[184:185], v[6:7], s[14:15], -v[202:203]
	v_fma_f64 v[202:203], v[6:7], s[14:15], v[202:203]
	v_fma_f64 v[186:187], v[251:252], s[14:15], v[208:209]
	v_add_f64 v[184:185], v[184:185], v[218:219]
	v_add_f64 v[202:203], v[202:203], v[4:5]
	v_fma_f64 v[4:5], v[251:252], s[14:15], -v[208:209]
	v_add_f64 v[186:187], v[186:187], v[224:225]
	v_mul_f64 v[224:225], v[247:248], s[40:41]
	v_add_f64 v[208:209], v[4:5], v[216:217]
	v_mul_f64 v[4:5], v[245:246], s[36:37]
	v_mul_f64 v[216:217], v[247:248], s[36:37]
	v_fma_f64 v[210:211], v[6:7], s[28:29], -v[4:5]
	v_fma_f64 v[4:5], v[6:7], s[28:29], v[4:5]
	v_fma_f64 v[212:213], v[251:252], s[28:29], v[216:217]
	v_add_f64 v[210:211], v[210:211], v[222:223]
	v_add_f64 v[214:215], v[4:5], v[220:221]
	v_fma_f64 v[4:5], v[251:252], s[28:29], -v[216:217]
	v_fma_f64 v[220:221], v[251:252], s[22:23], v[224:225]
	v_add_f64 v[212:213], v[212:213], v[230:231]
	v_add_f64 v[216:217], v[4:5], v[226:227]
	v_mul_f64 v[4:5], v[245:246], s[40:41]
	v_add_f64 v[220:221], v[220:221], v[237:238]
	v_fma_f64 v[218:219], v[6:7], s[22:23], -v[4:5]
	v_fma_f64 v[4:5], v[6:7], s[22:23], v[4:5]
	v_add_f64 v[218:219], v[218:219], v[233:234]
	v_add_f64 v[222:223], v[4:5], v[228:229]
	v_fma_f64 v[4:5], v[251:252], s[22:23], -v[224:225]
	v_add_f64 v[224:225], v[4:5], v[235:236]
	v_mul_f64 v[4:5], v[245:246], s[6:7]
	v_fma_f64 v[226:227], v[6:7], s[2:3], -v[4:5]
	v_fma_f64 v[4:5], v[6:7], s[2:3], v[4:5]
	v_add_f64 v[226:227], v[226:227], v[14:15]
	v_mul_f64 v[14:15], v[247:248], s[6:7]
	v_add_f64 v[233:234], v[4:5], v[12:13]
	v_fma_f64 v[4:5], v[251:252], s[2:3], -v[14:15]
	v_fma_f64 v[228:229], v[251:252], s[2:3], v[14:15]
	v_add_f64 v[235:236], v[4:5], v[16:17]
	v_mul_f64 v[4:5], v[245:246], s[44:45]
	v_add_f64 v[230:231], v[228:229], v[18:19]
	;; [unrolled: 5-line block ×5, first 2 shown]
	v_fma_f64 v[14:15], v[251:252], s[16:17], v[12:13]
	v_fma_f64 v[0:1], v[251:252], s[16:17], -v[12:13]
	v_add_f64 v[12:13], v[196:197], -v[198:199]
	v_add_f64 v[247:248], v[14:15], v[30:31]
	v_add_f64 v[251:252], v[0:1], v[2:3]
	;; [unrolled: 1-line block ×3, first 2 shown]
	v_mul_f64 v[4:5], v[12:13], s[26:27]
	v_add_f64 v[2:3], v[204:205], -v[206:207]
	v_mul_f64 v[34:35], v[12:13], s[44:45]
	v_add_f64 v[204:205], v[188:189], v[190:191]
	v_fma_f64 v[6:7], v[0:1], s[28:29], -v[4:5]
	v_fma_f64 v[4:5], v[0:1], s[28:29], v[4:5]
	v_add_f64 v[14:15], v[6:7], v[184:185]
	v_mul_f64 v[6:7], v[2:3], s[26:27]
	v_add_f64 v[18:19], v[4:5], v[202:203]
	v_mul_f64 v[184:185], v[2:3], s[18:19]
	v_fma_f64 v[4:5], v[253:254], s[28:29], -v[6:7]
	v_fma_f64 v[16:17], v[253:254], s[28:29], v[6:7]
	v_add_f64 v[20:21], v[4:5], v[208:209]
	v_mul_f64 v[4:5], v[12:13], s[20:21]
	v_add_f64 v[16:17], v[16:17], v[186:187]
	v_add_f64 v[208:209], v[192:193], v[194:195]
	v_fma_f64 v[6:7], v[0:1], s[2:3], -v[4:5]
	v_fma_f64 v[4:5], v[0:1], s[2:3], v[4:5]
	v_add_f64 v[22:23], v[6:7], v[210:211]
	v_mul_f64 v[6:7], v[2:3], s[20:21]
	v_add_f64 v[26:27], v[4:5], v[214:215]
	v_fma_f64 v[4:5], v[253:254], s[2:3], -v[6:7]
	v_fma_f64 v[24:25], v[253:254], s[2:3], v[6:7]
	v_add_f64 v[28:29], v[4:5], v[216:217]
	v_mul_f64 v[4:5], v[12:13], s[18:19]
	v_add_f64 v[24:25], v[24:25], v[212:213]
	v_add_f64 v[212:213], v[192:193], -v[194:195]
	v_fma_f64 v[6:7], v[0:1], s[16:17], -v[4:5]
	v_fma_f64 v[4:5], v[0:1], s[16:17], v[4:5]
	v_add_f64 v[30:31], v[6:7], v[218:219]
	v_fma_f64 v[6:7], v[253:254], s[16:17], v[184:185]
	v_add_f64 v[32:33], v[6:7], v[220:221]
	v_add_f64 v[6:7], v[4:5], v[222:223]
	v_fma_f64 v[4:5], v[253:254], s[16:17], -v[184:185]
	v_fma_f64 v[184:185], v[0:1], s[34:35], -v[34:35]
	v_fma_f64 v[34:35], v[0:1], s[34:35], v[34:35]
	v_add_f64 v[4:5], v[4:5], v[224:225]
	v_add_f64 v[228:229], v[184:185], v[226:227]
	v_mul_f64 v[184:185], v[2:3], s[44:45]
	v_add_f64 v[226:227], v[34:35], v[233:234]
	v_add_f64 v[233:234], v[188:189], -v[190:191]
	v_fma_f64 v[34:35], v[253:254], s[34:35], -v[184:185]
	v_fma_f64 v[186:187], v[253:254], s[34:35], v[184:185]
	v_add_f64 v[224:225], v[34:35], v[235:236]
	v_mul_f64 v[34:35], v[12:13], s[40:41]
	v_mul_f64 v[12:13], v[12:13], s[12:13]
	v_add_f64 v[230:231], v[186:187], v[230:231]
	v_fma_f64 v[184:185], v[0:1], s[22:23], -v[34:35]
	v_fma_f64 v[34:35], v[0:1], s[22:23], v[34:35]
	v_add_f64 v[220:221], v[184:185], v[237:238]
	v_mul_f64 v[184:185], v[2:3], s[40:41]
	v_add_f64 v[218:219], v[34:35], v[241:242]
	v_mul_f64 v[2:3], v[2:3], s[12:13]
	v_fma_f64 v[34:35], v[253:254], s[22:23], -v[184:185]
	v_fma_f64 v[186:187], v[253:254], s[22:23], v[184:185]
	v_add_f64 v[216:217], v[34:35], v[243:244]
	v_fma_f64 v[34:35], v[0:1], s[14:15], -v[12:13]
	v_fma_f64 v[0:1], v[0:1], s[14:15], v[12:13]
	v_add_f64 v[222:223], v[186:187], v[239:240]
	v_add_f64 v[214:215], v[34:35], v[245:246]
	;; [unrolled: 1-line block ×3, first 2 shown]
	v_fma_f64 v[0:1], v[253:254], s[14:15], -v[2:3]
	v_fma_f64 v[34:35], v[253:254], s[14:15], v[2:3]
	v_add_f64 v[202:203], v[0:1], v[251:252]
	v_mul_f64 v[0:1], v[233:234], s[30:31]
	v_add_f64 v[210:211], v[34:35], v[247:248]
	v_fma_f64 v[2:3], v[208:209], s[34:35], -v[0:1]
	v_fma_f64 v[0:1], v[208:209], s[34:35], v[0:1]
	v_add_f64 v[184:185], v[2:3], v[14:15]
	v_mul_f64 v[2:3], v[212:213], s[30:31]
	v_add_f64 v[188:189], v[0:1], v[18:19]
	v_mul_f64 v[14:15], v[212:213], s[26:27]
	v_fma_f64 v[0:1], v[204:205], s[34:35], -v[2:3]
	v_fma_f64 v[12:13], v[204:205], s[34:35], v[2:3]
	v_add_f64 v[190:191], v[0:1], v[20:21]
	v_mul_f64 v[0:1], v[233:234], s[40:41]
	v_add_f64 v[186:187], v[12:13], v[16:17]
	v_fma_f64 v[2:3], v[208:209], s[22:23], -v[0:1]
	v_fma_f64 v[0:1], v[208:209], s[22:23], v[0:1]
	v_add_f64 v[192:193], v[2:3], v[22:23]
	v_mul_f64 v[2:3], v[212:213], s[40:41]
	v_add_f64 v[196:197], v[0:1], v[26:27]
	v_fma_f64 v[12:13], v[204:205], s[22:23], v[2:3]
	v_fma_f64 v[0:1], v[204:205], s[22:23], -v[2:3]
	v_fma_f64 v[2:3], v[204:205], s[28:29], v[14:15]
	v_add_f64 v[194:195], v[12:13], v[24:25]
	v_mul_f64 v[12:13], v[233:234], s[26:27]
	v_add_f64 v[198:199], v[0:1], v[28:29]
	v_add_f64 v[2:3], v[2:3], v[32:33]
	v_fma_f64 v[0:1], v[208:209], s[28:29], -v[12:13]
	v_fma_f64 v[12:13], v[208:209], s[28:29], v[12:13]
	v_add_f64 v[0:1], v[0:1], v[30:31]
	v_add_f64 v[235:236], v[12:13], v[6:7]
	v_fma_f64 v[6:7], v[204:205], s[28:29], -v[14:15]
	v_mul_f64 v[12:13], v[233:234], s[42:43]
	v_mul_f64 v[14:15], v[212:213], s[42:43]
	v_add_f64 v[237:238], v[6:7], v[4:5]
	v_fma_f64 v[4:5], v[208:209], s[16:17], -v[12:13]
	v_fma_f64 v[12:13], v[208:209], s[16:17], v[12:13]
	v_fma_f64 v[6:7], v[204:205], s[16:17], v[14:15]
	v_add_f64 v[4:5], v[4:5], v[228:229]
	v_add_f64 v[226:227], v[12:13], v[226:227]
	v_fma_f64 v[12:13], v[204:205], s[16:17], -v[14:15]
	v_add_f64 v[6:7], v[6:7], v[230:231]
	v_add_f64 v[228:229], v[12:13], v[224:225]
	v_mul_f64 v[12:13], v[233:234], s[12:13]
	v_fma_f64 v[14:15], v[208:209], s[14:15], -v[12:13]
	v_fma_f64 v[12:13], v[208:209], s[14:15], v[12:13]
	v_add_f64 v[220:221], v[14:15], v[220:221]
	v_mul_f64 v[14:15], v[212:213], s[12:13]
	v_add_f64 v[239:240], v[12:13], v[218:219]
	v_fma_f64 v[12:13], v[204:205], s[14:15], -v[14:15]
	v_fma_f64 v[16:17], v[204:205], s[14:15], v[14:15]
	v_add_f64 v[241:242], v[12:13], v[216:217]
	v_mul_f64 v[12:13], v[233:234], s[20:21]
	v_add_f64 v[222:223], v[16:17], v[222:223]
	;; [unrolled: 5-line block ×3, first 2 shown]
	v_fma_f64 v[16:17], v[204:205], s[2:3], v[14:15]
	v_fma_f64 v[12:13], v[204:205], s[2:3], -v[14:15]
	v_add_f64 v[216:217], v[16:17], v[210:211]
	v_add_f64 v[208:209], v[12:13], v[202:203]
	ds_write_b128 v255, v[180:183]
	ds_write_b128 v255, v[184:187] offset:1248
	ds_write_b128 v255, v[192:195] offset:2496
	ds_write_b128 v255, v[0:3] offset:3744
	ds_write_b128 v255, v[4:7] offset:4992
	ds_write_b128 v255, v[220:223] offset:6240
	ds_write_b128 v255, v[214:217] offset:7488
	ds_write_b128 v255, v[206:209] offset:8736
	ds_write_b128 v255, v[239:242] offset:9984
	ds_write_b128 v255, v[226:229] offset:11232
	ds_write_b128 v255, v[235:238] offset:12480
	ds_write_b128 v255, v[196:199] offset:13728
	ds_write_b128 v255, v[188:191] offset:14976
	s_waitcnt lgkmcnt(0)
	s_waitcnt_vscnt null, 0x0
	s_barrier
	buffer_gl0_inv
	global_load_dwordx4 v[4:7], v[200:201], off offset:1888
	ds_read_b128 v[0:3], v255
	v_add_co_u32 v12, s0, 0x3f60, v8
	v_add_co_ci_u32_e64 v13, s0, 0, v9, s0
	s_waitcnt vmcnt(0) lgkmcnt(0)
	v_mul_f64 v[14:15], v[2:3], v[6:7]
	v_fma_f64 v[180:181], v[0:1], v[4:5], -v[14:15]
	v_mul_f64 v[0:1], v[0:1], v[6:7]
	v_fma_f64 v[182:183], v[2:3], v[4:5], v[0:1]
	global_load_dwordx4 v[4:7], v[12:13], off offset:1248
	ds_read_b128 v[0:3], v255 offset:1248
	ds_write_b128 v255, v[180:183]
	s_waitcnt vmcnt(0) lgkmcnt(1)
	v_mul_f64 v[12:13], v[2:3], v[6:7]
	v_fma_f64 v[180:181], v[0:1], v[4:5], -v[12:13]
	v_mul_f64 v[0:1], v[0:1], v[6:7]
	v_add_co_u32 v12, s0, 0x4800, v8
	v_add_co_ci_u32_e64 v13, s0, 0, v9, s0
	v_fma_f64 v[182:183], v[2:3], v[4:5], v[0:1]
	global_load_dwordx4 v[4:7], v[12:13], off offset:288
	ds_read_b128 v[0:3], v255 offset:2496
	ds_write_b128 v255, v[180:183] offset:1248
	s_waitcnt vmcnt(0) lgkmcnt(1)
	v_mul_f64 v[14:15], v[2:3], v[6:7]
	v_fma_f64 v[180:181], v[0:1], v[4:5], -v[14:15]
	v_mul_f64 v[0:1], v[0:1], v[6:7]
	v_fma_f64 v[182:183], v[2:3], v[4:5], v[0:1]
	global_load_dwordx4 v[4:7], v[12:13], off offset:1536
	ds_read_b128 v[0:3], v255 offset:3744
	ds_write_b128 v255, v[180:183] offset:2496
	s_waitcnt vmcnt(0) lgkmcnt(1)
	v_mul_f64 v[12:13], v[2:3], v[6:7]
	v_fma_f64 v[180:181], v[0:1], v[4:5], -v[12:13]
	v_mul_f64 v[0:1], v[0:1], v[6:7]
	v_add_co_u32 v12, s0, 0x5000, v8
	v_add_co_ci_u32_e64 v13, s0, 0, v9, s0
	v_fma_f64 v[182:183], v[2:3], v[4:5], v[0:1]
	global_load_dwordx4 v[4:7], v[12:13], off offset:736
	ds_read_b128 v[0:3], v255 offset:4992
	ds_write_b128 v255, v[180:183] offset:3744
	s_waitcnt vmcnt(0) lgkmcnt(1)
	v_mul_f64 v[14:15], v[2:3], v[6:7]
	v_fma_f64 v[180:181], v[0:1], v[4:5], -v[14:15]
	v_mul_f64 v[0:1], v[0:1], v[6:7]
	v_fma_f64 v[182:183], v[2:3], v[4:5], v[0:1]
	global_load_dwordx4 v[4:7], v[12:13], off offset:1984
	ds_read_b128 v[0:3], v255 offset:6240
	ds_write_b128 v255, v[180:183] offset:4992
	s_waitcnt vmcnt(0) lgkmcnt(1)
	v_mul_f64 v[12:13], v[2:3], v[6:7]
	v_fma_f64 v[180:181], v[0:1], v[4:5], -v[12:13]
	v_mul_f64 v[0:1], v[0:1], v[6:7]
	v_fma_f64 v[182:183], v[2:3], v[4:5], v[0:1]
	v_add_co_u32 v4, s0, 0x5800, v8
	v_add_co_ci_u32_e64 v5, s0, 0, v9, s0
	ds_read_b128 v[0:3], v255 offset:7488
	global_load_dwordx4 v[4:7], v[4:5], off offset:1184
	ds_write_b128 v255, v[180:183] offset:6240
	s_waitcnt vmcnt(0) lgkmcnt(1)
	v_mul_f64 v[12:13], v[2:3], v[6:7]
	v_fma_f64 v[180:181], v[0:1], v[4:5], -v[12:13]
	v_mul_f64 v[0:1], v[0:1], v[6:7]
	v_add_co_u32 v12, s0, 0x6000, v8
	v_add_co_ci_u32_e64 v13, s0, 0, v9, s0
	v_fma_f64 v[182:183], v[2:3], v[4:5], v[0:1]
	global_load_dwordx4 v[4:7], v[12:13], off offset:384
	ds_read_b128 v[0:3], v255 offset:8736
	ds_write_b128 v255, v[180:183] offset:7488
	s_waitcnt vmcnt(0) lgkmcnt(1)
	v_mul_f64 v[14:15], v[2:3], v[6:7]
	v_fma_f64 v[180:181], v[0:1], v[4:5], -v[14:15]
	v_mul_f64 v[0:1], v[0:1], v[6:7]
	v_fma_f64 v[182:183], v[2:3], v[4:5], v[0:1]
	global_load_dwordx4 v[4:7], v[12:13], off offset:1632
	ds_read_b128 v[0:3], v255 offset:9984
	ds_write_b128 v255, v[180:183] offset:8736
	s_waitcnt vmcnt(0) lgkmcnt(1)
	v_mul_f64 v[12:13], v[2:3], v[6:7]
	v_fma_f64 v[180:181], v[0:1], v[4:5], -v[12:13]
	v_mul_f64 v[0:1], v[0:1], v[6:7]
	v_fma_f64 v[182:183], v[2:3], v[4:5], v[0:1]
	v_add_co_u32 v4, s0, 0x6800, v8
	v_add_co_ci_u32_e64 v5, s0, 0, v9, s0
	ds_read_b128 v[0:3], v255 offset:11232
	global_load_dwordx4 v[4:7], v[4:5], off offset:832
	ds_write_b128 v255, v[180:183] offset:9984
	s_waitcnt vmcnt(0) lgkmcnt(1)
	v_mul_f64 v[12:13], v[2:3], v[6:7]
	v_fma_f64 v[180:181], v[0:1], v[4:5], -v[12:13]
	v_mul_f64 v[0:1], v[0:1], v[6:7]
	v_add_co_u32 v12, s0, 0x7000, v8
	v_add_co_ci_u32_e64 v13, s0, 0, v9, s0
	v_fma_f64 v[182:183], v[2:3], v[4:5], v[0:1]
	global_load_dwordx4 v[4:7], v[12:13], off offset:32
	ds_read_b128 v[0:3], v255 offset:12480
	ds_write_b128 v255, v[180:183] offset:11232
	s_waitcnt vmcnt(0) lgkmcnt(1)
	v_mul_f64 v[14:15], v[2:3], v[6:7]
	v_fma_f64 v[180:181], v[0:1], v[4:5], -v[14:15]
	v_mul_f64 v[0:1], v[0:1], v[6:7]
	v_fma_f64 v[182:183], v[2:3], v[4:5], v[0:1]
	global_load_dwordx4 v[4:7], v[12:13], off offset:1280
	ds_read_b128 v[0:3], v255 offset:13728
	ds_write_b128 v255, v[180:183] offset:12480
	s_waitcnt vmcnt(0) lgkmcnt(1)
	v_mul_f64 v[12:13], v[2:3], v[6:7]
	v_fma_f64 v[180:181], v[0:1], v[4:5], -v[12:13]
	v_mul_f64 v[0:1], v[0:1], v[6:7]
	v_fma_f64 v[182:183], v[2:3], v[4:5], v[0:1]
	v_add_co_u32 v4, s0, 0x7800, v8
	v_add_co_ci_u32_e64 v5, s0, 0, v9, s0
	ds_read_b128 v[0:3], v255 offset:14976
	global_load_dwordx4 v[4:7], v[4:5], off offset:480
	ds_write_b128 v255, v[180:183] offset:13728
	s_waitcnt vmcnt(0) lgkmcnt(1)
	v_mul_f64 v[8:9], v[2:3], v[6:7]
	v_fma_f64 v[180:181], v[0:1], v[4:5], -v[8:9]
	v_mul_f64 v[0:1], v[0:1], v[6:7]
	v_fma_f64 v[182:183], v[2:3], v[4:5], v[0:1]
	ds_write_b128 v255, v[180:183] offset:14976
	s_waitcnt lgkmcnt(0)
	s_barrier
	buffer_gl0_inv
	ds_read_b128 v[0:3], v255
	ds_read_b128 v[4:7], v255 offset:1248
	ds_read_b128 v[192:195], v255 offset:2496
	;; [unrolled: 1-line block ×12, first 2 shown]
	s_waitcnt lgkmcnt(0)
	s_barrier
	buffer_gl0_inv
	v_add_f64 v[12:13], v[2:3], v[6:7]
	v_add_f64 v[8:9], v[0:1], v[4:5]
	;; [unrolled: 1-line block ×26, first 2 shown]
	v_add_f64 v[4:5], v[4:5], -v[224:225]
	v_add_f64 v[6:7], v[6:7], -v[226:227]
	v_mul_f64 v[18:19], v[12:13], s[22:23]
	v_mul_f64 v[26:27], v[12:13], s[16:17]
	;; [unrolled: 1-line block ×12, first 2 shown]
	v_fma_f64 v[20:21], v[4:5], s[40:41], v[18:19]
	v_fma_f64 v[18:19], v[4:5], s[24:25], v[18:19]
	;; [unrolled: 1-line block ×12, first 2 shown]
	v_add_f64 v[12:13], v[194:195], -v[222:223]
	v_fma_f64 v[16:17], v[8:9], s[22:23], v[14:15]
	v_fma_f64 v[14:15], v[8:9], s[22:23], -v[14:15]
	v_fma_f64 v[24:25], v[8:9], s[16:17], v[22:23]
	v_fma_f64 v[22:23], v[8:9], s[16:17], -v[22:23]
	;; [unrolled: 2-line block ×4, first 2 shown]
	v_fma_f64 v[237:238], v[8:9], s[28:29], v[235:236]
	v_add_f64 v[20:21], v[2:3], v[20:21]
	v_add_f64 v[18:19], v[2:3], v[18:19]
	;; [unrolled: 1-line block ×9, first 2 shown]
	v_fma_f64 v[235:236], v[8:9], s[28:29], -v[235:236]
	v_add_f64 v[239:240], v[2:3], v[239:240]
	v_fma_f64 v[243:244], v[8:9], s[34:35], v[6:7]
	v_add_f64 v[245:246], v[2:3], v[245:246]
	v_fma_f64 v[6:7], v[8:9], s[34:35], -v[6:7]
	v_add_f64 v[2:3], v[2:3], v[4:5]
	v_add_f64 v[4:5], v[192:193], v[220:221]
	v_add_f64 v[8:9], v[192:193], -v[220:221]
	v_mul_f64 v[192:193], v[12:13], s[18:19]
	v_add_f64 v[16:17], v[0:1], v[16:17]
	v_add_f64 v[14:15], v[0:1], v[14:15]
	;; [unrolled: 1-line block ×13, first 2 shown]
	v_fma_f64 v[194:195], v[4:5], s[16:17], v[192:193]
	v_fma_f64 v[192:193], v[4:5], s[16:17], -v[192:193]
	v_mul_f64 v[222:223], v[6:7], s[28:29]
	v_add_f64 v[16:17], v[194:195], v[16:17]
	v_mul_f64 v[194:195], v[6:7], s[16:17]
	v_add_f64 v[14:15], v[192:193], v[14:15]
	v_fma_f64 v[192:193], v[8:9], s[18:19], v[194:195]
	v_fma_f64 v[220:221], v[8:9], s[42:43], v[194:195]
	v_add_f64 v[18:19], v[192:193], v[18:19]
	v_mul_f64 v[192:193], v[12:13], s[12:13]
	v_add_f64 v[20:21], v[220:221], v[20:21]
	v_fma_f64 v[194:195], v[4:5], s[14:15], v[192:193]
	v_fma_f64 v[192:193], v[4:5], s[14:15], -v[192:193]
	v_add_f64 v[24:25], v[194:195], v[24:25]
	v_mul_f64 v[194:195], v[6:7], s[14:15]
	v_add_f64 v[22:23], v[192:193], v[22:23]
	v_fma_f64 v[192:193], v[8:9], s[12:13], v[194:195]
	v_fma_f64 v[220:221], v[8:9], s[38:39], v[194:195]
	v_add_f64 v[26:27], v[192:193], v[26:27]
	v_mul_f64 v[192:193], v[12:13], s[30:31]
	v_add_f64 v[28:29], v[220:221], v[28:29]
	v_fma_f64 v[194:195], v[4:5], s[34:35], v[192:193]
	v_fma_f64 v[192:193], v[4:5], s[34:35], -v[192:193]
	v_add_f64 v[32:33], v[194:195], v[32:33]
	v_mul_f64 v[194:195], v[6:7], s[34:35]
	v_add_f64 v[30:31], v[192:193], v[30:31]
	v_fma_f64 v[192:193], v[8:9], s[30:31], v[194:195]
	v_fma_f64 v[220:221], v[8:9], s[44:45], v[194:195]
	v_add_f64 v[34:35], v[192:193], v[34:35]
	v_mul_f64 v[192:193], v[12:13], s[36:37]
	v_add_f64 v[220:221], v[220:221], v[224:225]
	v_fma_f64 v[224:225], v[8:9], s[26:27], v[222:223]
	v_fma_f64 v[222:223], v[8:9], s[36:37], v[222:223]
	;; [unrolled: 1-line block ×3, first 2 shown]
	v_fma_f64 v[192:193], v[4:5], s[28:29], -v[192:193]
	v_add_f64 v[224:225], v[224:225], v[233:234]
	v_add_f64 v[222:223], v[222:223], v[230:231]
	v_mul_f64 v[230:231], v[6:7], s[2:3]
	v_mul_f64 v[6:7], v[6:7], s[22:23]
	v_add_f64 v[194:195], v[194:195], v[228:229]
	v_add_f64 v[192:193], v[192:193], v[226:227]
	v_mul_f64 v[226:227], v[12:13], s[20:21]
	v_mul_f64 v[12:13], v[12:13], s[40:41]
	v_fma_f64 v[233:234], v[8:9], s[6:7], v[230:231]
	v_fma_f64 v[230:231], v[8:9], s[20:21], v[230:231]
	;; [unrolled: 1-line block ×3, first 2 shown]
	v_fma_f64 v[226:227], v[4:5], s[2:3], -v[226:227]
	v_add_f64 v[233:234], v[233:234], v[241:242]
	v_add_f64 v[230:231], v[230:231], v[239:240]
	;; [unrolled: 1-line block ×4, first 2 shown]
	v_fma_f64 v[235:236], v[4:5], s[22:23], v[12:13]
	v_fma_f64 v[4:5], v[4:5], s[22:23], -v[12:13]
	v_add_f64 v[12:13], v[198:199], -v[218:219]
	v_fma_f64 v[237:238], v[8:9], s[24:25], v[6:7]
	v_add_f64 v[235:236], v[235:236], v[243:244]
	v_add_f64 v[0:1], v[4:5], v[0:1]
	v_fma_f64 v[4:5], v[8:9], s[40:41], v[6:7]
	v_add_f64 v[8:9], v[196:197], -v[216:217]
	v_add_f64 v[6:7], v[198:199], v[218:219]
	v_add_f64 v[237:238], v[237:238], v[245:246]
	v_add_f64 v[2:3], v[4:5], v[2:3]
	v_add_f64 v[4:5], v[196:197], v[216:217]
	v_mul_f64 v[196:197], v[12:13], s[6:7]
	v_fma_f64 v[198:199], v[4:5], s[2:3], v[196:197]
	v_fma_f64 v[196:197], v[4:5], s[2:3], -v[196:197]
	v_add_f64 v[16:17], v[198:199], v[16:17]
	v_mul_f64 v[198:199], v[6:7], s[2:3]
	v_add_f64 v[14:15], v[196:197], v[14:15]
	v_fma_f64 v[196:197], v[8:9], s[6:7], v[198:199]
	v_fma_f64 v[216:217], v[8:9], s[20:21], v[198:199]
	v_add_f64 v[18:19], v[196:197], v[18:19]
	v_mul_f64 v[196:197], v[12:13], s[30:31]
	v_add_f64 v[20:21], v[216:217], v[20:21]
	v_fma_f64 v[198:199], v[4:5], s[34:35], v[196:197]
	v_fma_f64 v[196:197], v[4:5], s[34:35], -v[196:197]
	v_add_f64 v[24:25], v[198:199], v[24:25]
	v_mul_f64 v[198:199], v[6:7], s[34:35]
	v_add_f64 v[22:23], v[196:197], v[22:23]
	v_fma_f64 v[196:197], v[8:9], s[30:31], v[198:199]
	v_fma_f64 v[216:217], v[8:9], s[44:45], v[198:199]
	v_add_f64 v[26:27], v[196:197], v[26:27]
	v_mul_f64 v[196:197], v[12:13], s[38:39]
	v_add_f64 v[28:29], v[216:217], v[28:29]
	;; [unrolled: 10-line block ×3, first 2 shown]
	v_fma_f64 v[198:199], v[4:5], s[22:23], v[196:197]
	v_fma_f64 v[196:197], v[4:5], s[22:23], -v[196:197]
	v_add_f64 v[194:195], v[198:199], v[194:195]
	v_mul_f64 v[198:199], v[6:7], s[22:23]
	v_add_f64 v[192:193], v[196:197], v[192:193]
	v_fma_f64 v[218:219], v[8:9], s[24:25], v[198:199]
	v_fma_f64 v[196:197], v[8:9], s[40:41], v[198:199]
	v_mul_f64 v[198:199], v[12:13], s[18:19]
	v_mul_f64 v[12:13], v[12:13], s[26:27]
	v_add_f64 v[218:219], v[218:219], v[224:225]
	v_add_f64 v[196:197], v[196:197], v[222:223]
	v_fma_f64 v[220:221], v[4:5], s[16:17], v[198:199]
	v_fma_f64 v[198:199], v[4:5], s[16:17], -v[198:199]
	v_mul_f64 v[222:223], v[6:7], s[16:17]
	v_mul_f64 v[6:7], v[6:7], s[28:29]
	v_add_f64 v[220:221], v[220:221], v[228:229]
	v_add_f64 v[198:199], v[198:199], v[226:227]
	v_fma_f64 v[226:227], v[4:5], s[28:29], v[12:13]
	v_fma_f64 v[4:5], v[4:5], s[28:29], -v[12:13]
	v_add_f64 v[12:13], v[202:203], -v[214:215]
	v_fma_f64 v[224:225], v[8:9], s[42:43], v[222:223]
	v_fma_f64 v[222:223], v[8:9], s[18:19], v[222:223]
	;; [unrolled: 1-line block ×3, first 2 shown]
	v_add_f64 v[226:227], v[226:227], v[235:236]
	v_add_f64 v[0:1], v[4:5], v[0:1]
	v_fma_f64 v[4:5], v[8:9], s[26:27], v[6:7]
	v_add_f64 v[8:9], v[200:201], -v[212:213]
	v_add_f64 v[6:7], v[202:203], v[214:215]
	v_add_f64 v[222:223], v[222:223], v[230:231]
	;; [unrolled: 1-line block ×6, first 2 shown]
	v_mul_f64 v[200:201], v[12:13], s[12:13]
	v_fma_f64 v[202:203], v[4:5], s[14:15], v[200:201]
	v_fma_f64 v[200:201], v[4:5], s[14:15], -v[200:201]
	v_add_f64 v[16:17], v[202:203], v[16:17]
	v_mul_f64 v[202:203], v[6:7], s[14:15]
	v_add_f64 v[14:15], v[200:201], v[14:15]
	v_fma_f64 v[200:201], v[8:9], s[12:13], v[202:203]
	v_fma_f64 v[212:213], v[8:9], s[38:39], v[202:203]
	v_add_f64 v[18:19], v[200:201], v[18:19]
	v_mul_f64 v[200:201], v[12:13], s[36:37]
	v_add_f64 v[20:21], v[212:213], v[20:21]
	v_fma_f64 v[202:203], v[4:5], s[28:29], v[200:201]
	v_fma_f64 v[200:201], v[4:5], s[28:29], -v[200:201]
	v_add_f64 v[24:25], v[202:203], v[24:25]
	v_mul_f64 v[202:203], v[6:7], s[28:29]
	v_add_f64 v[22:23], v[200:201], v[22:23]
	v_fma_f64 v[200:201], v[8:9], s[36:37], v[202:203]
	v_fma_f64 v[212:213], v[8:9], s[26:27], v[202:203]
	v_add_f64 v[26:27], v[200:201], v[26:27]
	v_mul_f64 v[200:201], v[12:13], s[40:41]
	v_add_f64 v[28:29], v[212:213], v[28:29]
	;; [unrolled: 10-line block ×3, first 2 shown]
	v_fma_f64 v[202:203], v[4:5], s[2:3], v[200:201]
	v_fma_f64 v[200:201], v[4:5], s[2:3], -v[200:201]
	v_add_f64 v[214:215], v[202:203], v[194:195]
	v_mul_f64 v[194:195], v[6:7], s[2:3]
	v_fma_f64 v[202:203], v[8:9], s[20:21], v[194:195]
	v_add_f64 v[216:217], v[202:203], v[218:219]
	v_add_f64 v[218:219], v[200:201], v[192:193]
	v_fma_f64 v[192:193], v[8:9], s[6:7], v[194:195]
	v_add_f64 v[241:242], v[192:193], v[196:197]
	v_mul_f64 v[192:193], v[12:13], s[44:45]
	v_mul_f64 v[12:13], v[12:13], s[42:43]
	v_fma_f64 v[194:195], v[4:5], s[34:35], v[192:193]
	v_fma_f64 v[192:193], v[4:5], s[34:35], -v[192:193]
	v_add_f64 v[220:221], v[194:195], v[220:221]
	v_mul_f64 v[194:195], v[6:7], s[34:35]
	v_add_f64 v[245:246], v[192:193], v[198:199]
	v_mul_f64 v[6:7], v[6:7], s[16:17]
	v_fma_f64 v[192:193], v[8:9], s[44:45], v[194:195]
	v_fma_f64 v[196:197], v[8:9], s[30:31], v[194:195]
	v_add_f64 v[247:248], v[192:193], v[222:223]
	v_fma_f64 v[192:193], v[4:5], s[16:17], v[12:13]
	v_fma_f64 v[4:5], v[4:5], s[16:17], -v[12:13]
	v_add_f64 v[12:13], v[206:207], -v[210:211]
	v_add_f64 v[243:244], v[196:197], v[224:225]
	v_add_f64 v[249:250], v[192:193], v[226:227]
	v_fma_f64 v[192:193], v[8:9], s[18:19], v[6:7]
	v_add_f64 v[0:1], v[4:5], v[0:1]
	v_fma_f64 v[4:5], v[8:9], s[42:43], v[6:7]
	v_add_f64 v[6:7], v[206:207], v[210:211]
	v_add_f64 v[8:9], v[204:205], -v[208:209]
	v_add_f64 v[251:252], v[192:193], v[228:229]
	v_mul_f64 v[192:193], v[12:13], s[26:27]
	v_add_f64 v[2:3], v[4:5], v[2:3]
	v_add_f64 v[4:5], v[204:205], v[208:209]
	v_fma_f64 v[194:195], v[4:5], s[28:29], v[192:193]
	v_add_f64 v[233:234], v[194:195], v[16:17]
	v_mul_f64 v[16:17], v[6:7], s[28:29]
	v_fma_f64 v[194:195], v[8:9], s[36:37], v[16:17]
	v_add_f64 v[235:236], v[194:195], v[20:21]
	v_fma_f64 v[20:21], v[4:5], s[28:29], -v[192:193]
	v_add_f64 v[237:238], v[20:21], v[14:15]
	v_fma_f64 v[14:15], v[8:9], s[26:27], v[16:17]
	v_add_f64 v[239:240], v[14:15], v[18:19]
	v_mul_f64 v[14:15], v[12:13], s[20:21]
	v_fma_f64 v[16:17], v[4:5], s[2:3], v[14:15]
	v_fma_f64 v[14:15], v[4:5], s[2:3], -v[14:15]
	v_add_f64 v[196:197], v[16:17], v[24:25]
	v_mul_f64 v[16:17], v[6:7], s[2:3]
	v_add_f64 v[192:193], v[14:15], v[22:23]
	v_fma_f64 v[14:15], v[8:9], s[20:21], v[16:17]
	v_fma_f64 v[18:19], v[8:9], s[6:7], v[16:17]
	v_add_f64 v[194:195], v[14:15], v[26:27]
	v_mul_f64 v[14:15], v[12:13], s[18:19]
	v_add_f64 v[198:199], v[18:19], v[28:29]
	v_fma_f64 v[16:17], v[4:5], s[16:17], v[14:15]
	v_fma_f64 v[14:15], v[4:5], s[16:17], -v[14:15]
	v_add_f64 v[200:201], v[16:17], v[32:33]
	v_mul_f64 v[16:17], v[6:7], s[16:17]
	v_add_f64 v[204:205], v[14:15], v[30:31]
	v_fma_f64 v[14:15], v[8:9], s[18:19], v[16:17]
	v_fma_f64 v[18:19], v[8:9], s[42:43], v[16:17]
	v_add_f64 v[206:207], v[14:15], v[34:35]
	v_mul_f64 v[14:15], v[12:13], s[44:45]
	v_add_f64 v[202:203], v[18:19], v[212:213]
	v_fma_f64 v[16:17], v[4:5], s[34:35], v[14:15]
	v_fma_f64 v[14:15], v[4:5], s[34:35], -v[14:15]
	v_add_f64 v[208:209], v[16:17], v[214:215]
	v_mul_f64 v[16:17], v[6:7], s[34:35]
	v_add_f64 v[230:231], v[14:15], v[218:219]
	v_fma_f64 v[14:15], v[8:9], s[44:45], v[16:17]
	v_fma_f64 v[18:19], v[8:9], s[30:31], v[16:17]
	v_add_f64 v[228:229], v[14:15], v[241:242]
	v_mul_f64 v[14:15], v[12:13], s[40:41]
	v_mul_f64 v[12:13], v[12:13], s[12:13]
	v_add_f64 v[210:211], v[18:19], v[216:217]
	v_add_f64 v[241:242], v[184:185], -v[188:189]
	v_fma_f64 v[16:17], v[4:5], s[22:23], v[14:15]
	v_fma_f64 v[14:15], v[4:5], s[22:23], -v[14:15]
	v_add_f64 v[224:225], v[16:17], v[220:221]
	v_mul_f64 v[16:17], v[6:7], s[22:23]
	v_add_f64 v[222:223], v[14:15], v[245:246]
	v_mul_f64 v[6:7], v[6:7], s[14:15]
	v_add_f64 v[245:246], v[186:187], v[190:191]
	v_fma_f64 v[14:15], v[8:9], s[40:41], v[16:17]
	v_fma_f64 v[18:19], v[8:9], s[24:25], v[16:17]
	v_add_f64 v[220:221], v[14:15], v[247:248]
	v_fma_f64 v[14:15], v[4:5], s[14:15], v[12:13]
	v_fma_f64 v[4:5], v[4:5], s[14:15], -v[12:13]
	v_add_f64 v[247:248], v[186:187], -v[190:191]
	v_add_f64 v[226:227], v[18:19], v[243:244]
	v_add_f64 v[243:244], v[184:185], v[188:189]
	v_mul_f64 v[12:13], v[245:246], s[14:15]
	v_add_f64 v[218:219], v[14:15], v[249:250]
	v_add_f64 v[214:215], v[4:5], v[0:1]
	v_fma_f64 v[0:1], v[8:9], s[12:13], v[6:7]
	v_fma_f64 v[14:15], v[8:9], s[38:39], v[6:7]
	v_mul_f64 v[8:9], v[247:248], s[12:13]
	v_fma_f64 v[6:7], v[241:242], s[38:39], v[12:13]
	v_add_f64 v[212:213], v[0:1], v[2:3]
	v_mul_f64 v[0:1], v[247:248], s[30:31]
	v_add_f64 v[216:217], v[14:15], v[251:252]
	v_add_f64 v[6:7], v[6:7], v[226:227]
	v_fma_f64 v[2:3], v[243:244], s[34:35], v[0:1]
	v_fma_f64 v[0:1], v[243:244], s[34:35], -v[0:1]
	v_add_f64 v[188:189], v[2:3], v[233:234]
	v_mul_f64 v[2:3], v[245:246], s[34:35]
	v_add_f64 v[184:185], v[0:1], v[237:238]
	v_fma_f64 v[0:1], v[241:242], s[30:31], v[2:3]
	v_fma_f64 v[4:5], v[241:242], s[44:45], v[2:3]
	v_add_f64 v[186:187], v[0:1], v[239:240]
	v_mul_f64 v[0:1], v[247:248], s[40:41]
	v_add_f64 v[190:191], v[4:5], v[235:236]
	v_fma_f64 v[2:3], v[243:244], s[22:23], v[0:1]
	v_fma_f64 v[0:1], v[243:244], s[22:23], -v[0:1]
	v_add_f64 v[196:197], v[2:3], v[196:197]
	v_mul_f64 v[2:3], v[245:246], s[22:23]
	v_add_f64 v[192:193], v[0:1], v[192:193]
	v_fma_f64 v[0:1], v[241:242], s[40:41], v[2:3]
	v_fma_f64 v[4:5], v[241:242], s[24:25], v[2:3]
	v_add_f64 v[194:195], v[0:1], v[194:195]
	v_mul_f64 v[0:1], v[247:248], s[26:27]
	;; [unrolled: 10-line block ×3, first 2 shown]
	v_add_f64 v[202:203], v[4:5], v[202:203]
	v_fma_f64 v[2:3], v[243:244], s[16:17], v[0:1]
	v_fma_f64 v[0:1], v[243:244], s[16:17], -v[0:1]
	v_add_f64 v[208:209], v[2:3], v[208:209]
	v_mul_f64 v[2:3], v[245:246], s[16:17]
	v_add_f64 v[0:1], v[0:1], v[230:231]
	v_fma_f64 v[4:5], v[241:242], s[18:19], v[2:3]
	v_fma_f64 v[2:3], v[241:242], s[42:43], v[2:3]
	v_add_f64 v[210:211], v[4:5], v[210:211]
	v_fma_f64 v[4:5], v[243:244], s[14:15], v[8:9]
	v_fma_f64 v[8:9], v[243:244], s[14:15], -v[8:9]
	v_add_f64 v[2:3], v[2:3], v[228:229]
	v_add_f64 v[4:5], v[4:5], v[224:225]
	;; [unrolled: 1-line block ×3, first 2 shown]
	v_fma_f64 v[8:9], v[241:242], s[12:13], v[12:13]
	v_add_f64 v[224:225], v[8:9], v[220:221]
	v_mul_f64 v[8:9], v[247:248], s[20:21]
	v_fma_f64 v[12:13], v[243:244], s[2:3], v[8:9]
	v_fma_f64 v[8:9], v[243:244], s[2:3], -v[8:9]
	v_add_f64 v[218:219], v[12:13], v[218:219]
	v_mul_f64 v[12:13], v[245:246], s[2:3]
	v_add_f64 v[214:215], v[8:9], v[214:215]
	v_fma_f64 v[14:15], v[241:242], s[6:7], v[12:13]
	v_fma_f64 v[8:9], v[241:242], s[20:21], v[12:13]
	v_add_f64 v[220:221], v[14:15], v[216:217]
	v_add_f64 v[216:217], v[8:9], v[212:213]
	ds_write_b128 v232, v[180:183]
	ds_write_b128 v232, v[188:191] offset:16
	ds_write_b128 v232, v[196:199] offset:32
	;; [unrolled: 1-line block ×12, first 2 shown]
	s_waitcnt lgkmcnt(0)
	s_barrier
	buffer_gl0_inv
	ds_read_b128 v[180:183], v255
	ds_read_b128 v[192:195], v255 offset:2704
	ds_read_b128 v[196:199], v255 offset:5408
	;; [unrolled: 1-line block ×11, first 2 shown]
	s_and_saveexec_b32 s0, vcc_lo
	s_cbranch_execz .LBB0_7
; %bb.6:
	ds_read_b128 v[184:187], v255 offset:2496
	ds_read_b128 v[156:159], v255 offset:5200
	;; [unrolled: 1-line block ×6, first 2 shown]
.LBB0_7:
	s_or_b32 exec_lo, exec_lo, s0
	s_waitcnt lgkmcnt(8)
	v_mul_f64 v[0:1], v[134:135], v[224:225]
	s_waitcnt lgkmcnt(6)
	v_mul_f64 v[2:3], v[138:139], v[228:229]
	s_waitcnt lgkmcnt(2)
	v_mul_f64 v[4:5], v[122:123], v[216:217]
	s_waitcnt lgkmcnt(0)
	v_mul_f64 v[6:7], v[126:127], v[220:221]
	v_mul_f64 v[8:9], v[74:75], v[192:193]
	v_mul_f64 v[12:13], v[134:135], v[226:227]
	;; [unrolled: 1-line block ×16, first 2 shown]
	s_mov_b32 s0, 0xe8584caa
	s_mov_b32 s1, 0xbfebb67a
	v_fma_f64 v[0:1], v[132:133], v[226:227], -v[0:1]
	v_fma_f64 v[2:3], v[136:137], v[230:231], -v[2:3]
	;; [unrolled: 1-line block ×5, first 2 shown]
	v_fma_f64 v[12:13], v[132:133], v[224:225], v[12:13]
	v_fma_f64 v[14:15], v[136:137], v[228:229], v[14:15]
	v_fma_f64 v[16:17], v[76:77], v[206:207], -v[16:17]
	v_fma_f64 v[18:19], v[120:121], v[216:217], v[18:19]
	v_fma_f64 v[20:21], v[124:125], v[220:221], v[20:21]
	;; [unrolled: 1-line block ×3, first 2 shown]
	v_fma_f64 v[24:25], v[80:81], v[198:199], -v[24:25]
	v_fma_f64 v[26:27], v[92:93], v[200:201], v[26:27]
	v_fma_f64 v[28:29], v[92:93], v[202:203], -v[28:29]
	v_fma_f64 v[30:31], v[72:73], v[192:193], v[30:31]
	v_fma_f64 v[32:33], v[76:77], v[204:205], v[32:33]
	;; [unrolled: 1-line block ×3, first 2 shown]
	v_fma_f64 v[78:79], v[88:89], v[210:211], -v[78:79]
	v_fma_f64 v[82:83], v[84:85], v[212:213], v[82:83]
	v_fma_f64 v[84:85], v[84:85], v[214:215], -v[86:87]
	s_mov_b32 s3, 0x3febb67a
	s_mov_b32 s2, s0
	v_add_f64 v[34:35], v[0:1], v[2:3]
	v_add_f64 v[122:123], v[0:1], -v[2:3]
	v_add_f64 v[90:91], v[4:5], v[6:7]
	v_add_f64 v[126:127], v[4:5], -v[6:7]
	v_add_f64 v[0:1], v[8:9], v[0:1]
	v_add_f64 v[72:73], v[12:13], v[14:15]
	v_add_f64 v[80:81], v[12:13], -v[14:15]
	v_add_f64 v[4:5], v[16:17], v[4:5]
	;; [unrolled: 3-line block ×4, first 2 shown]
	v_add_f64 v[12:13], v[30:31], v[12:13]
	v_add_f64 v[18:19], v[32:33], v[18:19]
	s_barrier
	buffer_gl0_inv
	v_add_f64 v[132:133], v[78:79], -v[84:85]
	v_fma_f64 v[34:35], v[34:35], -0.5, v[8:9]
	v_fma_f64 v[88:89], v[90:91], -0.5, v[16:17]
	v_add_f64 v[90:91], v[180:181], v[22:23]
	v_add_f64 v[22:23], v[22:23], -v[26:27]
	v_fma_f64 v[72:73], v[72:73], -0.5, v[30:31]
	v_add_f64 v[30:31], v[74:75], v[82:83]
	v_fma_f64 v[76:77], v[76:77], -0.5, v[32:33]
	v_add_f64 v[28:29], v[120:121], v[28:29]
	;; [unrolled: 2-line block ×3, first 2 shown]
	v_add_f64 v[14:15], v[0:1], v[2:3]
	v_add_f64 v[18:19], v[18:19], v[20:21]
	;; [unrolled: 1-line block ×3, first 2 shown]
	v_fma_f64 v[124:125], v[80:81], s[2:3], v[34:35]
	v_fma_f64 v[34:35], v[80:81], s[0:1], v[34:35]
	v_add_f64 v[80:81], v[78:79], v[84:85]
	v_fma_f64 v[8:9], v[86:87], s[2:3], v[88:89]
	v_fma_f64 v[86:87], v[86:87], s[0:1], v[88:89]
	v_add_f64 v[88:89], v[188:189], v[74:75]
	v_add_f64 v[16:17], v[90:91], v[26:27]
	v_fma_f64 v[26:27], v[92:93], -0.5, v[180:181]
	v_fma_f64 v[32:33], v[122:123], s[0:1], v[72:73]
	v_fma_f64 v[72:73], v[122:123], s[2:3], v[72:73]
	v_add_f64 v[78:79], v[190:191], v[78:79]
	v_add_f64 v[74:75], v[74:75], -v[82:83]
	v_fma_f64 v[30:31], v[30:31], -0.5, v[188:189]
	v_fma_f64 v[122:123], v[126:127], s[0:1], v[76:77]
	v_fma_f64 v[76:77], v[126:127], s[2:3], v[76:77]
	v_add_f64 v[2:3], v[28:29], v[14:15]
	v_add_f64 v[6:7], v[28:29], -v[14:15]
	v_mul_f64 v[90:91], v[124:125], s[0:1]
	v_mul_f64 v[120:121], v[124:125], 0.5
	v_mul_f64 v[92:93], v[34:35], s[0:1]
	v_mul_f64 v[34:35], v[34:35], -0.5
	v_fma_f64 v[80:81], v[80:81], -0.5, v[190:191]
	v_mul_f64 v[124:125], v[8:9], s[0:1]
	v_mul_f64 v[8:9], v[8:9], 0.5
	v_mul_f64 v[126:127], v[86:87], s[0:1]
	v_mul_f64 v[86:87], v[86:87], -0.5
	v_add_f64 v[82:83], v[88:89], v[82:83]
	v_fma_f64 v[88:89], v[94:95], s[0:1], v[26:27]
	v_fma_f64 v[26:27], v[94:95], s[2:3], v[26:27]
	;; [unrolled: 1-line block ×4, first 2 shown]
	v_add_f64 v[78:79], v[78:79], v[84:85]
	v_fma_f64 v[134:135], v[132:133], s[0:1], v[30:31]
	v_fma_f64 v[30:31], v[132:133], s[2:3], v[30:31]
	v_add_f64 v[0:1], v[16:17], v[12:13]
	v_add_f64 v[4:5], v[16:17], -v[12:13]
	v_fma_f64 v[24:25], v[32:33], 0.5, v[90:91]
	v_fma_f64 v[32:33], v[32:33], s[2:3], v[120:121]
	v_fma_f64 v[90:91], v[72:73], -0.5, v[92:93]
	v_fma_f64 v[34:35], v[72:73], s[2:3], v[34:35]
	v_fma_f64 v[138:139], v[74:75], s[2:3], v[80:81]
	v_fma_f64 v[132:133], v[122:123], 0.5, v[124:125]
	v_fma_f64 v[8:9], v[122:123], s[2:3], v[8:9]
	v_fma_f64 v[180:181], v[74:75], s[0:1], v[80:81]
	v_fma_f64 v[136:137], v[76:77], -0.5, v[126:127]
	v_fma_f64 v[182:183], v[76:77], s[2:3], v[86:87]
	v_add_f64 v[72:73], v[82:83], v[18:19]
	v_add_f64 v[76:77], v[82:83], -v[18:19]
	v_add_f64 v[74:75], v[78:79], v[20:21]
	v_add_f64 v[78:79], v[78:79], -v[20:21]
	v_add_f64 v[80:81], v[88:89], v[24:25]
	v_add_f64 v[82:83], v[94:95], v[32:33]
	;; [unrolled: 1-line block ×4, first 2 shown]
	v_add_f64 v[88:89], v[88:89], -v[24:25]
	v_add_f64 v[92:93], v[26:27], -v[90:91]
	;; [unrolled: 1-line block ×4, first 2 shown]
	v_add_f64 v[120:121], v[134:135], v[132:133]
	v_add_f64 v[122:123], v[138:139], v[8:9]
	;; [unrolled: 1-line block ×4, first 2 shown]
	v_add_f64 v[132:133], v[134:135], -v[132:133]
	v_add_f64 v[134:135], v[138:139], -v[8:9]
	;; [unrolled: 1-line block ×4, first 2 shown]
	ds_write_b128 v11, v[0:3]
	ds_write_b128 v11, v[4:7] offset:624
	ds_write_b128 v11, v[80:83] offset:208
	;; [unrolled: 1-line block ×5, first 2 shown]
	ds_write_b128 v10, v[72:75]
	ds_write_b128 v10, v[120:123] offset:208
	ds_write_b128 v10, v[124:127] offset:416
	;; [unrolled: 1-line block ×5, first 2 shown]
	s_and_saveexec_b32 s6, vcc_lo
	s_cbranch_execz .LBB0_9
; %bb.8:
	v_mul_f64 v[0:1], v[66:67], v[164:165]
	v_mul_f64 v[2:3], v[70:71], v[176:177]
	;; [unrolled: 1-line block ×10, first 2 shown]
	v_fma_f64 v[0:1], v[64:65], v[166:167], -v[0:1]
	v_fma_f64 v[2:3], v[68:69], v[178:179], -v[2:3]
	;; [unrolled: 1-line block ×4, first 2 shown]
	v_fma_f64 v[4:5], v[64:65], v[164:165], v[4:5]
	v_fma_f64 v[6:7], v[68:69], v[176:177], v[6:7]
	v_fma_f64 v[12:13], v[56:57], v[174:175], -v[12:13]
	v_fma_f64 v[14:15], v[60:61], v[156:157], v[14:15]
	v_fma_f64 v[18:19], v[52:53], v[160:161], v[18:19]
	;; [unrolled: 1-line block ×3, first 2 shown]
	v_add_f64 v[16:17], v[0:1], v[2:3]
	v_add_f64 v[28:29], v[0:1], -v[2:3]
	v_add_f64 v[34:35], v[186:187], v[10:11]
	v_add_f64 v[0:1], v[8:9], v[0:1]
	;; [unrolled: 1-line block ×3, first 2 shown]
	v_add_f64 v[24:25], v[4:5], -v[6:7]
	v_add_f64 v[26:27], v[10:11], v[12:13]
	v_add_f64 v[4:5], v[14:15], v[4:5]
	v_add_f64 v[32:33], v[18:19], -v[20:21]
	v_fma_f64 v[16:17], v[16:17], -0.5, v[8:9]
	v_add_f64 v[8:9], v[10:11], -v[12:13]
	v_add_f64 v[12:13], v[34:35], v[12:13]
	v_add_f64 v[34:35], v[0:1], v[2:3]
	v_fma_f64 v[22:23], v[22:23], -0.5, v[14:15]
	v_add_f64 v[10:11], v[184:185], v[18:19]
	v_fma_f64 v[14:15], v[26:27], -0.5, v[186:187]
	v_add_f64 v[4:5], v[4:5], v[6:7]
	v_fma_f64 v[30:31], v[24:25], s[0:1], v[16:17]
	v_fma_f64 v[16:17], v[24:25], s[2:3], v[16:17]
	v_add_f64 v[24:25], v[18:19], v[20:21]
	v_add_f64 v[2:3], v[12:13], -v[34:35]
	v_add_f64 v[6:7], v[12:13], v[34:35]
	s_clause 0x1
	buffer_load_dword v12, off, s[48:51], 0
	buffer_load_dword v13, off, s[48:51], 0 offset:160
	v_fma_f64 v[18:19], v[28:29], s[2:3], v[22:23]
	v_fma_f64 v[22:23], v[28:29], s[0:1], v[22:23]
	v_add_f64 v[10:11], v[10:11], v[20:21]
	v_fma_f64 v[20:21], v[32:33], s[0:1], v[14:15]
	v_fma_f64 v[14:15], v[32:33], s[2:3], v[14:15]
	v_mul_f64 v[26:27], v[30:31], -0.5
	v_mul_f64 v[28:29], v[16:17], 0.5
	v_fma_f64 v[24:25], v[24:25], -0.5, v[184:185]
	v_mul_f64 v[16:17], v[16:17], s[0:1]
	v_mul_f64 v[30:31], v[30:31], s[0:1]
	v_add_f64 v[0:1], v[10:11], -v[4:5]
	v_add_f64 v[4:5], v[10:11], v[4:5]
	v_fma_f64 v[26:27], v[18:19], s[2:3], v[26:27]
	v_fma_f64 v[28:29], v[22:23], s[2:3], v[28:29]
	;; [unrolled: 1-line block ×4, first 2 shown]
	v_fma_f64 v[16:17], v[22:23], 0.5, v[16:17]
	v_fma_f64 v[18:19], v[18:19], -0.5, v[30:31]
	v_add_f64 v[58:59], v[20:21], v[26:27]
	v_add_f64 v[62:63], v[14:15], v[28:29]
	v_add_f64 v[54:55], v[14:15], -v[28:29]
	v_add_f64 v[10:11], v[20:21], -v[26:27]
	v_add_f64 v[60:61], v[8:9], v[16:17]
	v_add_f64 v[56:57], v[32:33], v[18:19]
	v_add_f64 v[52:53], v[8:9], -v[16:17]
	v_add_f64 v[8:9], v[32:33], -v[18:19]
	s_waitcnt vmcnt(0)
	v_lshl_add_u32 v12, v13, 4, v12
	ds_write_b128 v12, v[4:7] offset:14976
	ds_write_b128 v12, v[0:3] offset:15600
	;; [unrolled: 1-line block ×6, first 2 shown]
.LBB0_9:
	s_or_b32 exec_lo, exec_lo, s6
	s_waitcnt lgkmcnt(0)
	s_barrier
	buffer_gl0_inv
	ds_read_b128 v[0:3], v255 offset:1248
	ds_read_b128 v[52:55], v255
	ds_read_b128 v[4:7], v255 offset:2496
	ds_read_b128 v[8:11], v255 offset:3744
	;; [unrolled: 1-line block ×11, first 2 shown]
	s_mov_b32 s2, 0x4267c47c
	s_mov_b32 s6, 0xe00740e9
	;; [unrolled: 1-line block ×9, first 2 shown]
	s_waitcnt lgkmcnt(10)
	v_mul_f64 v[16:17], v[106:107], v[6:7]
	s_waitcnt lgkmcnt(9)
	v_mul_f64 v[18:19], v[102:103], v[10:11]
	v_mul_f64 v[20:21], v[102:103], v[8:9]
	s_waitcnt lgkmcnt(8)
	v_mul_f64 v[22:23], v[98:99], v[58:59]
	v_mul_f64 v[28:29], v[98:99], v[56:57]
	s_waitcnt lgkmcnt(7)
	v_mul_f64 v[34:35], v[130:131], v[62:63]
	v_mul_f64 v[92:93], v[130:131], v[60:61]
	s_waitcnt lgkmcnt(6)
	v_mul_f64 v[102:103], v[118:119], v[66:67]
	v_mul_f64 v[12:13], v[142:143], v[2:3]
	v_mul_f64 v[14:15], v[142:143], v[0:1]
	s_waitcnt lgkmcnt(0)
	v_mul_f64 v[24:25], v[154:155], v[90:91]
	v_mul_f64 v[26:27], v[150:151], v[84:85]
	;; [unrolled: 1-line block ×5, first 2 shown]
	s_mov_b32 s24, 0x2ef20147
	s_mov_b32 s30, 0x24c2f84
	;; [unrolled: 1-line block ×8, first 2 shown]
	v_fma_f64 v[8:9], v[100:101], v[8:9], v[18:19]
	v_fma_f64 v[10:11], v[100:101], v[10:11], -v[20:21]
	v_fma_f64 v[22:23], v[96:97], v[56:57], v[22:23]
	v_fma_f64 v[28:29], v[96:97], v[58:59], -v[28:29]
	;; [unrolled: 2-line block ×3, first 2 shown]
	v_fma_f64 v[56:57], v[116:117], v[64:65], v[102:103]
	v_fma_f64 v[12:13], v[140:141], v[0:1], v[12:13]
	v_mul_f64 v[0:1], v[106:107], v[4:5]
	v_fma_f64 v[2:3], v[140:141], v[2:3], -v[14:15]
	v_fma_f64 v[4:5], v[104:105], v[4:5], v[16:17]
	v_fma_f64 v[20:21], v[152:153], v[88:89], v[24:25]
	v_mul_f64 v[16:17], v[154:155], v[88:89]
	v_mul_f64 v[106:107], v[114:115], v[68:69]
	;; [unrolled: 1-line block ×3, first 2 shown]
	v_fma_f64 v[26:27], v[148:149], v[86:87], -v[26:27]
	v_fma_f64 v[62:63], v[168:169], v[76:77], v[94:95]
	v_fma_f64 v[76:77], v[168:169], v[78:79], -v[98:99]
	s_mov_b32 s35, 0xbfcea1e5
	s_mov_b32 s26, 0xb2365da1
	;; [unrolled: 1-line block ×3, first 2 shown]
	v_mul_f64 v[30:31], v[146:147], v[82:83]
	v_fma_f64 v[32:33], v[144:145], v[82:83], -v[32:33]
	s_mov_b32 s27, 0xbfd6b1d8
	s_mov_b32 s41, 0xbfef11f4
	;; [unrolled: 1-line block ×6, first 2 shown]
	v_add_f64 v[14:15], v[52:53], v[12:13]
	v_fma_f64 v[6:7], v[104:105], v[6:7], -v[0:1]
	v_add_f64 v[0:1], v[54:55], v[2:3]
	v_mul_f64 v[104:105], v[118:119], v[64:65]
	s_mov_b32 s23, 0x3fefc445
	v_fma_f64 v[16:17], v[152:153], v[90:91], -v[16:17]
	v_mul_f64 v[90:91], v[114:115], v[70:71]
	v_mul_f64 v[114:115], v[110:111], v[74:75]
	;; [unrolled: 1-line block ×3, first 2 shown]
	v_fma_f64 v[18:19], v[148:149], v[84:85], v[18:19]
	v_add_f64 v[86:87], v[28:29], v[76:77]
	v_add_f64 v[88:89], v[28:29], -v[76:77]
	s_mov_b32 s39, 0x3fe5384d
	s_mov_b32 s22, s18
	;; [unrolled: 1-line block ×3, first 2 shown]
	v_fma_f64 v[30:31], v[144:145], v[80:81], v[30:31]
	v_add_f64 v[82:83], v[10:11], v[32:33]
	s_mov_b32 s29, 0x3fedeba7
	s_mov_b32 s43, 0x3fcea1e5
	;; [unrolled: 1-line block ×4, first 2 shown]
	v_add_f64 v[84:85], v[22:23], v[62:63]
	v_add_f64 v[14:15], v[14:15], v[4:5]
	;; [unrolled: 1-line block ×4, first 2 shown]
	v_fma_f64 v[0:1], v[116:117], v[66:67], -v[104:105]
	v_add_f64 v[6:7], v[6:7], -v[26:27]
	v_add_f64 v[64:65], v[2:3], -v[16:17]
	v_fma_f64 v[58:59], v[112:113], v[68:69], v[90:91]
	v_add_f64 v[66:67], v[2:3], v[16:17]
	v_fma_f64 v[2:3], v[112:113], v[70:71], -v[106:107]
	v_fma_f64 v[68:69], v[108:109], v[72:73], v[114:115]
	v_fma_f64 v[70:71], v[108:109], v[74:75], -v[110:111]
	v_add_f64 v[72:73], v[12:13], v[20:21]
	v_add_f64 v[12:13], v[12:13], -v[20:21]
	v_add_f64 v[74:75], v[4:5], v[18:19]
	v_add_f64 v[4:5], v[4:5], -v[18:19]
	v_add_f64 v[80:81], v[8:9], v[30:31]
	v_mul_f64 v[130:131], v[82:83], s[20:21]
	v_mul_f64 v[134:135], v[82:83], s[40:41]
	;; [unrolled: 1-line block ×6, first 2 shown]
	v_add_f64 v[14:15], v[14:15], v[8:9]
	v_mul_f64 v[110:111], v[78:79], s[16:17]
	v_add_f64 v[24:25], v[24:25], v[10:11]
	v_add_f64 v[10:11], v[10:11], -v[32:33]
	v_mul_f64 v[108:109], v[6:7], s[14:15]
	v_mul_f64 v[90:91], v[64:65], s[2:3]
	;; [unrolled: 1-line block ×18, first 2 shown]
	v_add_f64 v[14:15], v[14:15], v[22:23]
	v_mul_f64 v[122:123], v[78:79], s[36:37]
	v_add_f64 v[24:25], v[24:25], v[28:29]
	v_mul_f64 v[28:29], v[66:67], s[26:27]
	v_mul_f64 v[66:67], v[66:67], s[40:41]
	v_fma_f64 v[154:155], v[72:73], s[6:7], v[90:91]
	v_fma_f64 v[90:91], v[72:73], s[6:7], -v[90:91]
	v_fma_f64 v[156:157], v[12:13], s[0:1], v[92:93]
	v_fma_f64 v[92:93], v[12:13], s[2:3], v[92:93]
	;; [unrolled: 1-line block ×6, first 2 shown]
	v_fma_f64 v[94:95], v[72:73], s[16:17], -v[94:95]
	v_fma_f64 v[164:165], v[12:13], s[22:23], v[100:101]
	v_fma_f64 v[98:99], v[72:73], s[20:21], -v[98:99]
	v_fma_f64 v[100:101], v[12:13], s[18:19], v[100:101]
	v_fma_f64 v[166:167], v[72:73], s[26:27], v[102:103]
	v_fma_f64 v[102:103], v[72:73], s[26:27], -v[102:103]
	v_fma_f64 v[170:171], v[72:73], s[36:37], v[104:105]
	v_fma_f64 v[172:173], v[12:13], s[38:39], v[106:107]
	v_fma_f64 v[104:105], v[72:73], s[36:37], -v[104:105]
	v_add_f64 v[14:15], v[14:15], v[34:35]
	v_fma_f64 v[106:107], v[12:13], s[30:31], v[106:107]
	v_add_f64 v[24:25], v[24:25], v[60:61]
	v_fma_f64 v[174:175], v[72:73], s[40:41], v[64:65]
	v_fma_f64 v[64:65], v[72:73], s[40:41], -v[64:65]
	v_mul_f64 v[126:127], v[78:79], s[20:21]
	v_mul_f64 v[78:79], v[78:79], s[6:7]
	v_fma_f64 v[168:169], v[12:13], s[28:29], v[28:29]
	v_fma_f64 v[28:29], v[12:13], s[24:25], v[28:29]
	;; [unrolled: 1-line block ×4, first 2 shown]
	v_add_f64 v[8:9], v[8:9], -v[30:31]
	v_mul_f64 v[128:129], v[10:11], s[18:19]
	v_mul_f64 v[132:133], v[10:11], s[34:35]
	;; [unrolled: 1-line block ×3, first 2 shown]
	v_fma_f64 v[66:67], v[74:75], s[16:17], v[108:109]
	v_fma_f64 v[72:73], v[4:5], s[12:13], v[110:111]
	v_fma_f64 v[108:109], v[74:75], s[16:17], -v[108:109]
	v_fma_f64 v[110:111], v[4:5], s[14:15], v[110:111]
	v_fma_f64 v[178:179], v[74:75], s[26:27], v[112:113]
	;; [unrolled: 1-line block ×4, first 2 shown]
	v_add_f64 v[14:15], v[14:15], v[56:57]
	v_fma_f64 v[182:183], v[74:75], s[40:41], v[116:117]
	v_add_f64 v[24:25], v[24:25], v[0:1]
	v_add_f64 v[154:155], v[52:53], v[154:155]
	;; [unrolled: 1-line block ×9, first 2 shown]
	v_mul_f64 v[140:141], v[10:11], s[0:1]
	v_mul_f64 v[144:145], v[10:11], s[14:15]
	;; [unrolled: 1-line block ×3, first 2 shown]
	v_fma_f64 v[112:113], v[74:75], s[26:27], -v[112:113]
	v_fma_f64 v[184:185], v[4:5], s[42:43], v[118:119]
	v_fma_f64 v[118:119], v[4:5], s[34:35], v[118:119]
	;; [unrolled: 1-line block ×3, first 2 shown]
	v_fma_f64 v[6:7], v[74:75], s[6:7], -v[6:7]
	v_add_f64 v[94:95], v[52:53], v[94:95]
	v_add_f64 v[164:165], v[54:55], v[164:165]
	;; [unrolled: 1-line block ×9, first 2 shown]
	v_fma_f64 v[116:117], v[74:75], s[40:41], -v[116:117]
	v_fma_f64 v[186:187], v[74:75], s[36:37], v[120:121]
	v_fma_f64 v[188:189], v[4:5], s[30:31], v[122:123]
	v_fma_f64 v[120:121], v[74:75], s[36:37], -v[120:121]
	v_fma_f64 v[122:123], v[4:5], s[38:39], v[122:123]
	v_fma_f64 v[192:193], v[4:5], s[18:19], v[126:127]
	;; [unrolled: 1-line block ×5, first 2 shown]
	v_add_f64 v[172:173], v[54:55], v[172:173]
	v_add_f64 v[12:13], v[54:55], v[12:13]
	v_add_f64 v[22:23], v[22:23], -v[62:63]
	v_mul_f64 v[148:149], v[88:89], s[24:25]
	v_mul_f64 v[150:151], v[86:87], s[26:27]
	v_fma_f64 v[190:191], v[74:75], s[20:21], v[124:125]
	v_fma_f64 v[124:125], v[74:75], s[20:21], -v[124:125]
	v_add_f64 v[14:15], v[14:15], v[68:69]
	v_fma_f64 v[74:75], v[80:81], s[20:21], v[128:129]
	v_add_f64 v[24:25], v[24:25], v[70:71]
	v_fma_f64 v[78:79], v[80:81], s[20:21], -v[128:129]
	v_fma_f64 v[128:129], v[8:9], s[18:19], v[130:131]
	v_fma_f64 v[198:199], v[8:9], s[42:43], v[134:135]
	;; [unrolled: 1-line block ×4, first 2 shown]
	v_add_f64 v[168:169], v[54:55], v[168:169]
	v_add_f64 v[28:29], v[54:55], v[28:29]
	;; [unrolled: 1-line block ×3, first 2 shown]
	v_fma_f64 v[202:203], v[8:9], s[24:25], v[138:139]
	v_fma_f64 v[138:139], v[8:9], s[28:29], v[138:139]
	v_add_f64 v[94:95], v[112:113], v[94:95]
	v_add_f64 v[100:101], v[118:119], v[100:101]
	v_mul_f64 v[152:153], v[88:89], s[38:39]
	v_fma_f64 v[136:137], v[80:81], s[26:27], -v[136:137]
	v_fma_f64 v[204:205], v[80:81], s[6:7], v[140:141]
	v_fma_f64 v[206:207], v[8:9], s[2:3], v[142:143]
	;; [unrolled: 1-line block ×5, first 2 shown]
	v_add_f64 v[14:15], v[14:15], v[62:63]
	v_fma_f64 v[62:63], v[8:9], s[22:23], v[130:131]
	v_add_f64 v[24:25], v[24:25], v[76:77]
	v_fma_f64 v[130:131], v[80:81], s[40:41], v[132:133]
	v_fma_f64 v[132:133], v[80:81], s[40:41], -v[132:133]
	v_fma_f64 v[76:77], v[80:81], s[36:37], v[10:11]
	v_fma_f64 v[10:11], v[80:81], s[36:37], -v[10:11]
	v_add_f64 v[98:99], v[116:117], v[98:99]
	v_add_f64 v[112:113], v[186:187], v[166:167]
	;; [unrolled: 1-line block ×4, first 2 shown]
	v_fma_f64 v[140:141], v[80:81], s[6:7], -v[140:141]
	v_fma_f64 v[208:209], v[80:81], s[16:17], v[144:145]
	v_fma_f64 v[144:145], v[80:81], s[16:17], -v[144:145]
	v_add_f64 v[118:119], v[34:35], v[68:69]
	v_add_f64 v[34:35], v[34:35], -v[68:69]
	v_add_f64 v[14:15], v[14:15], v[30:31]
	v_fma_f64 v[30:31], v[8:9], s[38:39], v[82:83]
	v_add_f64 v[24:25], v[24:25], v[32:33]
	v_add_f64 v[32:33], v[52:53], v[104:105]
	v_add_f64 v[104:105], v[54:55], v[106:107]
	v_add_f64 v[106:107], v[52:53], v[174:175]
	v_add_f64 v[52:53], v[52:53], v[64:65]
	v_add_f64 v[174:175], v[54:55], v[176:177]
	v_add_f64 v[54:55], v[66:67], v[154:155]
	v_add_f64 v[64:65], v[72:73], v[156:157]
	v_add_f64 v[66:67], v[108:109], v[90:91]
	v_add_f64 v[72:73], v[110:111], v[92:93]
	v_add_f64 v[90:91], v[178:179], v[158:159]
	v_add_f64 v[92:93], v[180:181], v[160:161]
	v_add_f64 v[108:109], v[182:183], v[162:163]
	v_add_f64 v[110:111], v[184:185], v[164:165]
	v_fma_f64 v[8:9], v[8:9], s[30:31], v[82:83]
	v_fma_f64 v[82:83], v[84:85], s[26:27], v[148:149]
	v_add_f64 v[80:81], v[206:207], v[114:115]
	v_mul_f64 v[114:115], v[86:87], s[20:21]
	v_add_f64 v[14:15], v[14:15], v[18:19]
	v_add_f64 v[18:19], v[24:25], v[26:27]
	;; [unrolled: 1-line block ×15, first 2 shown]
	v_fma_f64 v[96:97], v[22:23], s[28:29], v[150:151]
	v_mul_f64 v[108:109], v[88:89], s[0:1]
	v_add_f64 v[78:79], v[132:133], v[94:95]
	v_add_f64 v[94:95], v[202:203], v[110:111]
	v_mul_f64 v[110:111], v[86:87], s[6:7]
	v_add_f64 v[8:9], v[8:9], v[12:13]
	v_add_f64 v[4:5], v[14:15], v[20:21]
	;; [unrolled: 3-line block ×3, first 2 shown]
	v_fma_f64 v[100:101], v[84:85], s[26:27], -v[148:149]
	v_add_f64 v[14:15], v[136:137], v[98:99]
	v_add_f64 v[10:11], v[10:11], v[52:53]
	v_add_f64 v[52:53], v[60:61], -v[70:71]
	v_add_f64 v[18:19], v[204:205], v[112:113]
	v_add_f64 v[98:99], v[210:211], v[102:103]
	v_fma_f64 v[102:103], v[22:23], s[24:25], v[150:151]
	v_add_f64 v[76:77], v[76:77], v[106:107]
	v_fma_f64 v[106:107], v[84:85], s[36:37], v[152:153]
	v_mul_f64 v[112:113], v[88:89], s[18:19]
	v_add_f64 v[12:13], v[60:61], v[70:71]
	v_add_f64 v[32:33], v[124:125], v[32:33]
	v_add_f64 v[104:105], v[126:127], v[104:105]
	v_add_f64 v[30:31], v[30:31], v[116:117]
	v_add_f64 v[54:55], v[82:83], v[54:55]
	v_add_f64 v[60:61], v[96:97], v[62:63]
	v_mul_f64 v[62:63], v[88:89], s[42:43]
	v_fma_f64 v[70:71], v[84:85], s[36:37], -v[152:153]
	v_mul_f64 v[82:83], v[86:87], s[40:41]
	v_fma_f64 v[116:117], v[22:23], s[30:31], v[20:21]
	v_fma_f64 v[20:21], v[22:23], s[38:39], v[20:21]
	;; [unrolled: 1-line block ×3, first 2 shown]
	v_mul_f64 v[86:87], v[86:87], s[16:17]
	v_add_f64 v[64:65], v[100:101], v[64:65]
	v_fma_f64 v[100:101], v[22:23], s[2:3], v[110:111]
	v_mul_f64 v[88:89], v[88:89], s[12:13]
	v_mul_f64 v[120:121], v[52:53], s[30:31]
	v_add_f64 v[26:27], v[122:123], v[28:29]
	v_add_f64 v[66:67], v[102:103], v[66:67]
	v_fma_f64 v[102:103], v[84:85], s[6:7], -v[108:109]
	v_add_f64 v[72:73], v[106:107], v[72:73]
	v_fma_f64 v[106:107], v[84:85], s[20:21], v[112:113]
	v_mul_f64 v[68:69], v[12:13], s[36:37]
	v_fma_f64 v[108:109], v[22:23], s[0:1], v[110:111]
	v_add_f64 v[32:33], v[144:145], v[32:33]
	v_add_f64 v[104:105], v[146:147], v[104:105]
	v_fma_f64 v[110:111], v[22:23], s[22:23], v[114:115]
	v_fma_f64 v[114:115], v[22:23], s[18:19], v[114:115]
	v_fma_f64 v[112:113], v[84:85], s[20:21], -v[112:113]
	v_add_f64 v[70:71], v[70:71], v[78:79]
	v_fma_f64 v[78:79], v[22:23], s[34:35], v[82:83]
	v_add_f64 v[74:75], v[116:117], v[74:75]
	v_fma_f64 v[116:117], v[84:85], s[40:41], v[62:63]
	v_add_f64 v[20:21], v[20:21], v[90:91]
	v_fma_f64 v[62:63], v[84:85], s[40:41], -v[62:63]
	v_fma_f64 v[82:83], v[22:23], s[42:43], v[82:83]
	v_add_f64 v[90:91], v[96:97], v[92:93]
	v_fma_f64 v[96:97], v[22:23], s[14:15], v[86:87]
	v_fma_f64 v[22:23], v[22:23], s[12:13], v[86:87]
	v_add_f64 v[92:93], v[100:101], v[94:95]
	v_fma_f64 v[94:95], v[84:85], s[16:17], v[88:89]
	v_fma_f64 v[84:85], v[84:85], s[16:17], -v[88:89]
	v_fma_f64 v[86:87], v[118:119], s[36:37], v[120:121]
	v_mul_f64 v[88:89], v[52:53], s[22:23]
	v_mul_f64 v[100:101], v[12:13], s[20:21]
	v_add_f64 v[28:29], v[190:191], v[170:171]
	v_add_f64 v[14:15], v[102:103], v[14:15]
	;; [unrolled: 1-line block ×3, first 2 shown]
	v_fma_f64 v[102:103], v[34:35], s[38:39], v[68:69]
	v_mul_f64 v[106:107], v[52:53], s[14:15]
	v_add_f64 v[16:17], v[108:109], v[16:17]
	v_mul_f64 v[108:109], v[12:13], s[16:17]
	v_add_f64 v[24:25], v[140:141], v[24:25]
	v_add_f64 v[78:79], v[78:79], v[98:99]
	v_mul_f64 v[98:99], v[52:53], s[42:43]
	v_fma_f64 v[68:69], v[34:35], s[30:31], v[68:69]
	v_add_f64 v[32:33], v[62:63], v[32:33]
	v_add_f64 v[62:63], v[82:83], v[104:105]
	v_fma_f64 v[82:83], v[118:119], s[36:37], -v[120:121]
	v_add_f64 v[26:27], v[142:143], v[26:27]
	v_add_f64 v[8:9], v[22:23], v[8:9]
	v_add_f64 v[22:23], v[0:1], -v[2:3]
	v_mul_f64 v[104:105], v[12:13], s[40:41]
	v_add_f64 v[10:11], v[84:85], v[10:11]
	v_add_f64 v[0:1], v[0:1], v[2:3]
	;; [unrolled: 1-line block ×3, first 2 shown]
	v_fma_f64 v[54:55], v[118:119], s[20:21], v[88:89]
	v_fma_f64 v[84:85], v[34:35], s[18:19], v[100:101]
	v_add_f64 v[28:29], v[208:209], v[28:29]
	v_add_f64 v[76:77], v[94:95], v[76:77]
	v_mul_f64 v[94:95], v[52:53], s[0:1]
	v_add_f64 v[30:31], v[96:97], v[30:31]
	v_add_f64 v[60:61], v[102:103], v[60:61]
	v_fma_f64 v[86:87], v[118:119], s[20:21], -v[88:89]
	v_fma_f64 v[96:97], v[118:119], s[16:17], v[106:107]
	v_mul_f64 v[102:103], v[12:13], s[6:7]
	v_fma_f64 v[88:89], v[34:35], s[22:23], v[100:101]
	v_fma_f64 v[100:101], v[34:35], s[12:13], v[108:109]
	v_add_f64 v[24:25], v[112:113], v[24:25]
	v_add_f64 v[112:113], v[68:69], v[66:67]
	;; [unrolled: 1-line block ×3, first 2 shown]
	v_fma_f64 v[82:83], v[118:119], s[40:41], v[98:99]
	v_mul_f64 v[12:13], v[12:13], s[26:27]
	v_add_f64 v[66:67], v[56:57], v[58:59]
	v_add_f64 v[56:57], v[56:57], -v[58:59]
	v_mul_f64 v[58:59], v[22:23], s[34:35]
	v_fma_f64 v[98:99], v[118:119], s[40:41], -v[98:99]
	v_add_f64 v[26:27], v[114:115], v[26:27]
	v_mul_f64 v[52:53], v[52:53], s[24:25]
	v_mul_f64 v[68:69], v[0:1], s[40:41]
	v_add_f64 v[54:55], v[54:55], v[72:73]
	v_add_f64 v[72:73], v[84:85], v[74:75]
	v_fma_f64 v[74:75], v[34:35], s[42:43], v[104:105]
	v_add_f64 v[28:29], v[116:117], v[28:29]
	v_fma_f64 v[106:107], v[118:119], s[16:17], -v[106:107]
	v_fma_f64 v[84:85], v[118:119], s[6:7], v[94:95]
	v_fma_f64 v[108:109], v[34:35], s[14:15], v[108:109]
	v_add_f64 v[70:71], v[86:87], v[70:71]
	v_add_f64 v[86:87], v[96:97], v[90:91]
	v_fma_f64 v[90:91], v[34:35], s[2:3], v[102:103]
	v_add_f64 v[20:21], v[88:89], v[20:21]
	v_add_f64 v[88:89], v[100:101], v[92:93]
	v_fma_f64 v[92:93], v[118:119], s[6:7], -v[94:95]
	v_add_f64 v[80:81], v[110:111], v[80:81]
	v_fma_f64 v[110:111], v[34:35], s[34:35], v[104:105]
	v_add_f64 v[18:19], v[82:83], v[18:19]
	v_fma_f64 v[82:83], v[34:35], s[0:1], v[102:103]
	v_fma_f64 v[96:97], v[34:35], s[28:29], v[12:13]
	;; [unrolled: 1-line block ×4, first 2 shown]
	v_add_f64 v[24:25], v[98:99], v[24:25]
	v_mul_f64 v[98:99], v[22:23], s[0:1]
	v_mul_f64 v[102:103], v[0:1], s[6:7]
	v_fma_f64 v[94:95], v[118:119], s[26:27], v[52:53]
	v_fma_f64 v[100:101], v[56:57], s[42:43], v[68:69]
	v_add_f64 v[26:27], v[74:75], v[26:27]
	v_mul_f64 v[74:75], v[22:23], s[30:31]
	v_mul_f64 v[104:105], v[0:1], s[36:37]
	v_add_f64 v[14:15], v[106:107], v[14:15]
	v_add_f64 v[28:29], v[84:85], v[28:29]
	v_mul_f64 v[84:85], v[22:23], s[12:13]
	v_mul_f64 v[106:107], v[0:1], s[16:17]
	v_add_f64 v[16:17], v[108:109], v[16:17]
	;; [unrolled: 4-line block ×3, first 2 shown]
	v_mul_f64 v[22:23], v[22:23], s[22:23]
	v_mul_f64 v[92:93], v[0:1], s[20:21]
	v_fma_f64 v[52:53], v[118:119], s[26:27], -v[52:53]
	v_add_f64 v[12:13], v[12:13], v[8:9]
	v_add_f64 v[0:1], v[34:35], v[2:3]
	v_fma_f64 v[8:9], v[66:67], s[40:41], -v[58:59]
	v_fma_f64 v[34:35], v[66:67], s[6:7], v[98:99]
	v_fma_f64 v[58:59], v[56:57], s[2:3], v[102:103]
	v_add_f64 v[82:83], v[82:83], v[62:63]
	v_add_f64 v[94:95], v[94:95], v[76:77]
	;; [unrolled: 1-line block ×3, first 2 shown]
	v_fma_f64 v[60:61], v[66:67], s[6:7], -v[98:99]
	v_fma_f64 v[62:63], v[66:67], s[36:37], v[74:75]
	v_fma_f64 v[76:77], v[56:57], s[38:39], v[104:105]
	v_add_f64 v[80:81], v[110:111], v[80:81]
	v_add_f64 v[30:31], v[96:97], v[30:31]
	v_fma_f64 v[96:97], v[66:67], s[16:17], v[84:85]
	v_fma_f64 v[98:99], v[56:57], s[14:15], v[106:107]
	v_fma_f64 v[84:85], v[66:67], s[16:17], -v[84:85]
	v_fma_f64 v[100:101], v[66:67], s[26:27], v[90:91]
	v_fma_f64 v[110:111], v[56:57], s[28:29], v[108:109]
	v_fma_f64 v[74:75], v[66:67], s[36:37], -v[74:75]
	v_fma_f64 v[114:115], v[66:67], s[20:21], v[22:23]
	v_fma_f64 v[116:117], v[56:57], s[18:19], v[92:93]
	v_add_f64 v[10:11], v[52:53], v[10:11]
	v_fma_f64 v[90:91], v[66:67], s[26:27], -v[90:91]
	v_fma_f64 v[22:23], v[66:67], s[20:21], -v[22:23]
	v_fma_f64 v[66:67], v[56:57], s[22:23], v[92:93]
	v_fma_f64 v[92:93], v[56:57], s[24:25], v[108:109]
	;; [unrolled: 1-line block ×6, first 2 shown]
	v_add_f64 v[52:53], v[34:35], v[54:55]
	v_add_f64 v[54:55], v[58:59], v[72:73]
	v_add_f64 v[56:57], v[60:61], v[70:71]
	v_add_f64 v[60:61], v[62:63], v[86:87]
	v_add_f64 v[62:63], v[76:77], v[88:89]
	v_add_f64 v[68:69], v[96:97], v[18:19]
	v_add_f64 v[70:71], v[98:99], v[80:81]
	v_add_f64 v[72:73], v[84:85], v[24:25]
	v_add_f64 v[76:77], v[100:101], v[28:29]
	v_add_f64 v[78:79], v[110:111], v[78:79]
	v_add_f64 v[8:9], v[8:9], v[64:65]
	v_add_f64 v[84:85], v[114:115], v[94:95]
	v_add_f64 v[86:87], v[116:117], v[30:31]
	v_add_f64 v[64:65], v[74:75], v[14:15]
	v_add_f64 v[80:81], v[90:91], v[32:33]
	v_add_f64 v[88:89], v[22:23], v[10:11]
	v_add_f64 v[90:91], v[66:67], v[12:13]
	v_add_f64 v[82:83], v[92:93], v[82:83]
	v_add_f64 v[74:75], v[106:107], v[26:27]
	v_add_f64 v[66:67], v[104:105], v[16:17]
	v_add_f64 v[58:59], v[102:103], v[20:21]
	v_add_f64 v[10:11], v[108:109], v[112:113]
	ds_write_b128 v255, v[4:7]
	ds_write_b128 v255, v[0:3] offset:1248
	ds_write_b128 v255, v[52:55] offset:2496
	;; [unrolled: 1-line block ×12, first 2 shown]
	s_waitcnt lgkmcnt(0)
	s_barrier
	buffer_gl0_inv
	ds_read_b128 v[0:3], v255
	ds_read_b128 v[4:7], v255 offset:1248
	s_clause 0x3
	buffer_load_dword v31, off, s[48:51], 0 offset:16
	buffer_load_dword v32, off, s[48:51], 0 offset:20
	;; [unrolled: 1-line block ×4, first 2 shown]
	ds_read_b128 v[8:11], v255 offset:2496
	s_clause 0x6
	buffer_load_dword v16, off, s[48:51], 0 offset:4
	buffer_load_dword v17, off, s[48:51], 0 offset:8
	;; [unrolled: 1-line block ×7, first 2 shown]
	ds_read_b128 v[52:55], v255 offset:3744
	s_mov_b32 s0, 0xfc7729e9
	s_mov_b32 s1, 0x3f502864
	s_mul_i32 s2, s9, 0x4e0
	s_mul_hi_u32 s3, s8, 0x4e0
	s_add_i32 s2, s3, s2
	s_mul_i32 s3, s8, 0x4e0
	s_waitcnt vmcnt(7) lgkmcnt(3)
	v_mul_f64 v[12:13], v[33:34], v[2:3]
	v_mul_f64 v[14:15], v[33:34], v[0:1]
	s_waitcnt vmcnt(6)
	v_mov_b32_e32 v28, v16
	s_waitcnt vmcnt(1) lgkmcnt(2)
	v_mul_f64 v[18:19], v[58:59], v[6:7]
	v_mul_f64 v[20:21], v[58:59], v[4:5]
	s_clause 0x3
	buffer_load_dword v58, off, s[48:51], 0 offset:80
	buffer_load_dword v59, off, s[48:51], 0 offset:84
	;; [unrolled: 1-line block ×4, first 2 shown]
	s_waitcnt vmcnt(4)
	v_mad_u64_u32 v[22:23], null, s8, v30, 0
	v_mad_u64_u32 v[16:17], null, s10, v28, 0
	v_fma_f64 v[12:13], v[31:32], v[0:1], v[12:13]
	v_mov_b32_e32 v0, v17
	v_fma_f64 v[14:15], v[31:32], v[2:3], -v[14:15]
	v_mov_b32_e32 v17, v23
	v_fma_f64 v[20:21], v[56:57], v[6:7], -v[20:21]
	v_mad_u64_u32 v[28:29], null, s11, v28, v[0:1]
	ds_read_b128 v[0:3], v255 offset:4992
	s_clause 0x3
	buffer_load_dword v32, off, s[48:51], 0 offset:144
	buffer_load_dword v33, off, s[48:51], 0 offset:148
	;; [unrolled: 1-line block ×4, first 2 shown]
	v_mad_u64_u32 v[29:30], null, s9, v30, v[17:18]
	v_fma_f64 v[18:19], v[56:57], v[4:5], v[18:19]
	v_mov_b32_e32 v17, v28
	v_mov_b32_e32 v23, v29
	v_mul_f64 v[4:5], v[12:13], s[0:1]
	v_lshlrev_b64 v[12:13], 4, v[16:17]
	v_mul_f64 v[6:7], v[14:15], s[0:1]
	v_lshlrev_b64 v[14:15], 4, v[22:23]
	v_add_co_u32 v12, vcc_lo, s4, v12
	v_add_co_ci_u32_e32 v13, vcc_lo, s5, v13, vcc_lo
	v_add_co_u32 v56, vcc_lo, v12, v14
	v_add_co_ci_u32_e32 v57, vcc_lo, v13, v15, vcc_lo
	v_mul_f64 v[14:15], v[20:21], s[0:1]
	v_mul_f64 v[12:13], v[18:19], s[0:1]
	s_waitcnt vmcnt(4) lgkmcnt(2)
	v_mul_f64 v[24:25], v[60:61], v[10:11]
	v_mul_f64 v[26:27], v[60:61], v[8:9]
	v_fma_f64 v[24:25], v[58:59], v[8:9], v[24:25]
	v_fma_f64 v[26:27], v[58:59], v[10:11], -v[26:27]
	ds_read_b128 v[8:11], v255 offset:6240
	s_clause 0x3
	buffer_load_dword v58, off, s[48:51], 0 offset:128
	buffer_load_dword v59, off, s[48:51], 0 offset:132
	buffer_load_dword v60, off, s[48:51], 0 offset:136
	buffer_load_dword v61, off, s[48:51], 0 offset:140
	s_waitcnt vmcnt(4) lgkmcnt(2)
	v_mul_f64 v[28:29], v[34:35], v[54:55]
	v_mul_f64 v[30:31], v[34:35], v[52:53]
	;; [unrolled: 1-line block ×4, first 2 shown]
	v_add_co_u32 v26, vcc_lo, v56, s3
	v_fma_f64 v[20:21], v[32:33], v[52:53], v[28:29]
	v_fma_f64 v[24:25], v[32:33], v[54:55], -v[30:31]
	ds_read_b128 v[30:33], v255 offset:7488
	s_clause 0x3
	buffer_load_dword v72, off, s[48:51], 0 offset:32
	buffer_load_dword v73, off, s[48:51], 0 offset:36
	;; [unrolled: 1-line block ×4, first 2 shown]
	v_add_co_ci_u32_e32 v27, vcc_lo, s2, v57, vcc_lo
	v_add_co_u32 v28, vcc_lo, v26, s3
	global_store_dwordx4 v[56:57], v[4:7], off
	v_add_co_ci_u32_e32 v29, vcc_lo, s2, v27, vcc_lo
	v_mul_f64 v[4:5], v[20:21], s[0:1]
	v_mul_f64 v[6:7], v[24:25], s[0:1]
	s_waitcnt vmcnt(4) lgkmcnt(2)
	v_mul_f64 v[22:23], v[60:61], v[2:3]
	v_mul_f64 v[34:35], v[60:61], v[0:1]
	v_fma_f64 v[22:23], v[58:59], v[0:1], v[22:23]
	v_fma_f64 v[34:35], v[58:59], v[2:3], -v[34:35]
	ds_read_b128 v[0:3], v255 offset:8736
	global_store_dwordx4 v[26:27], v[12:15], off
	global_store_dwordx4 v[28:29], v[16:19], off
	s_waitcnt vmcnt(0) lgkmcnt(2)
	v_mul_f64 v[68:69], v[74:75], v[10:11]
	v_mul_f64 v[70:71], v[74:75], v[8:9]
	s_clause 0x3
	buffer_load_dword v74, off, s[48:51], 0 offset:48
	buffer_load_dword v75, off, s[48:51], 0 offset:52
	;; [unrolled: 1-line block ×4, first 2 shown]
	ds_read_b128 v[12:15], v255 offset:9984
	ds_read_b128 v[16:19], v255 offset:11232
	;; [unrolled: 1-line block ×5, first 2 shown]
	v_add_co_u32 v26, vcc_lo, v28, s3
	v_add_co_ci_u32_e32 v27, vcc_lo, s2, v29, vcc_lo
	v_mul_f64 v[60:61], v[22:23], s[0:1]
	v_mul_f64 v[62:63], v[34:35], s[0:1]
	v_add_co_u32 v34, vcc_lo, v26, s3
	v_fma_f64 v[8:9], v[72:73], v[8:9], v[68:69]
	v_fma_f64 v[10:11], v[72:73], v[10:11], -v[70:71]
	v_add_co_ci_u32_e32 v35, vcc_lo, s2, v27, vcc_lo
	s_waitcnt lgkmcnt(1)
	v_mul_f64 v[72:73], v[46:47], v[58:59]
	v_mul_f64 v[46:47], v[46:47], v[56:57]
	s_waitcnt vmcnt(0)
	v_mul_f64 v[20:21], v[76:77], v[32:33]
	v_mul_f64 v[24:25], v[76:77], v[30:31]
	s_clause 0x3
	buffer_load_dword v76, off, s[48:51], 0 offset:96
	buffer_load_dword v77, off, s[48:51], 0 offset:100
	;; [unrolled: 1-line block ×4, first 2 shown]
	v_fma_f64 v[20:21], v[74:75], v[30:31], v[20:21]
	v_fma_f64 v[24:25], v[74:75], v[32:33], -v[24:25]
	v_mul_f64 v[30:31], v[38:39], v[18:19]
	v_mul_f64 v[32:33], v[38:39], v[16:17]
	;; [unrolled: 1-line block ×4, first 2 shown]
	s_waitcnt lgkmcnt(0)
	v_mul_f64 v[74:75], v[50:51], v[66:67]
	v_mul_f64 v[50:51], v[50:51], v[64:65]
	v_fma_f64 v[16:17], v[36:37], v[16:17], v[30:31]
	v_fma_f64 v[18:19], v[36:37], v[18:19], -v[32:33]
	v_fma_f64 v[30:31], v[48:49], v[66:67], -v[50:51]
	v_mul_f64 v[16:17], v[16:17], s[0:1]
	v_mul_f64 v[18:19], v[18:19], s[0:1]
	;; [unrolled: 1-line block ×3, first 2 shown]
	s_waitcnt vmcnt(0)
	v_mul_f64 v[22:23], v[78:79], v[2:3]
	v_mul_f64 v[28:29], v[78:79], v[0:1]
	s_clause 0x3
	buffer_load_dword v78, off, s[48:51], 0 offset:112
	buffer_load_dword v79, off, s[48:51], 0 offset:116
	;; [unrolled: 1-line block ×4, first 2 shown]
	global_store_dwordx4 v[26:27], v[4:7], off
	global_store_dwordx4 v[34:35], v[60:63], off
	v_mul_f64 v[4:5], v[8:9], s[0:1]
	v_mul_f64 v[6:7], v[10:11], s[0:1]
	v_fma_f64 v[26:27], v[44:45], v[58:59], -v[46:47]
	v_add_co_u32 v34, vcc_lo, v34, s3
	v_add_co_ci_u32_e32 v35, vcc_lo, s2, v35, vcc_lo
	v_add_co_u32 v32, vcc_lo, v34, s3
	v_add_co_ci_u32_e32 v33, vcc_lo, s2, v35, vcc_lo
	;; [unrolled: 2-line block ×3, first 2 shown]
	v_fma_f64 v[8:9], v[76:77], v[0:1], v[22:23]
	v_fma_f64 v[10:11], v[76:77], v[2:3], -v[28:29]
	v_mul_f64 v[0:1], v[20:21], s[0:1]
	v_fma_f64 v[20:21], v[40:41], v[52:53], v[38:39]
	v_fma_f64 v[22:23], v[40:41], v[54:55], -v[42:43]
	v_mul_f64 v[2:3], v[24:25], s[0:1]
	v_fma_f64 v[24:25], v[44:45], v[56:57], v[72:73]
	v_fma_f64 v[28:29], v[48:49], v[64:65], v[74:75]
	v_add_co_u32 v38, vcc_lo, v36, s3
	v_add_co_ci_u32_e32 v39, vcc_lo, s2, v37, vcc_lo
	v_mul_f64 v[26:27], v[26:27], s[0:1]
	v_add_co_u32 v40, vcc_lo, v38, s3
	v_add_co_ci_u32_e32 v41, vcc_lo, s2, v39, vcc_lo
	global_store_dwordx4 v[34:35], v[4:7], off
	v_add_co_u32 v4, vcc_lo, v40, s3
	v_add_co_ci_u32_e32 v5, vcc_lo, s2, v41, vcc_lo
	v_mul_f64 v[8:9], v[8:9], s[0:1]
	v_mul_f64 v[10:11], v[10:11], s[0:1]
	;; [unrolled: 1-line block ×4, first 2 shown]
	global_store_dwordx4 v[32:33], v[0:3], off
	v_mul_f64 v[24:25], v[24:25], s[0:1]
	v_mul_f64 v[28:29], v[28:29], s[0:1]
	v_add_co_u32 v0, vcc_lo, v4, s3
	v_add_co_ci_u32_e32 v1, vcc_lo, s2, v5, vcc_lo
	v_add_co_u32 v2, vcc_lo, v0, s3
	v_add_co_ci_u32_e32 v3, vcc_lo, s2, v1, vcc_lo
	global_store_dwordx4 v[36:37], v[8:11], off
	s_waitcnt vmcnt(0)
	v_mul_f64 v[68:69], v[80:81], v[14:15]
	v_mul_f64 v[70:71], v[80:81], v[12:13]
	v_fma_f64 v[12:13], v[78:79], v[12:13], v[68:69]
	v_fma_f64 v[14:15], v[78:79], v[14:15], -v[70:71]
	v_mul_f64 v[12:13], v[12:13], s[0:1]
	v_mul_f64 v[14:15], v[14:15], s[0:1]
	global_store_dwordx4 v[38:39], v[12:15], off
	global_store_dwordx4 v[40:41], v[16:19], off
	;; [unrolled: 1-line block ×5, first 2 shown]
.LBB0_10:
	s_endpgm
	.section	.rodata,"a",@progbits
	.p2align	6, 0x0
	.amdhsa_kernel bluestein_single_back_len1014_dim1_dp_op_CI_CI
		.amdhsa_group_segment_fixed_size 32448
		.amdhsa_private_segment_fixed_size 168
		.amdhsa_kernarg_size 104
		.amdhsa_user_sgpr_count 6
		.amdhsa_user_sgpr_private_segment_buffer 1
		.amdhsa_user_sgpr_dispatch_ptr 0
		.amdhsa_user_sgpr_queue_ptr 0
		.amdhsa_user_sgpr_kernarg_segment_ptr 1
		.amdhsa_user_sgpr_dispatch_id 0
		.amdhsa_user_sgpr_flat_scratch_init 0
		.amdhsa_user_sgpr_private_segment_size 0
		.amdhsa_wavefront_size32 1
		.amdhsa_uses_dynamic_stack 0
		.amdhsa_system_sgpr_private_segment_wavefront_offset 1
		.amdhsa_system_sgpr_workgroup_id_x 1
		.amdhsa_system_sgpr_workgroup_id_y 0
		.amdhsa_system_sgpr_workgroup_id_z 0
		.amdhsa_system_sgpr_workgroup_info 0
		.amdhsa_system_vgpr_workitem_id 0
		.amdhsa_next_free_vgpr 256
		.amdhsa_next_free_sgpr 52
		.amdhsa_reserve_vcc 1
		.amdhsa_reserve_flat_scratch 0
		.amdhsa_float_round_mode_32 0
		.amdhsa_float_round_mode_16_64 0
		.amdhsa_float_denorm_mode_32 3
		.amdhsa_float_denorm_mode_16_64 3
		.amdhsa_dx10_clamp 1
		.amdhsa_ieee_mode 1
		.amdhsa_fp16_overflow 0
		.amdhsa_workgroup_processor_mode 1
		.amdhsa_memory_ordered 1
		.amdhsa_forward_progress 0
		.amdhsa_shared_vgpr_count 0
		.amdhsa_exception_fp_ieee_invalid_op 0
		.amdhsa_exception_fp_denorm_src 0
		.amdhsa_exception_fp_ieee_div_zero 0
		.amdhsa_exception_fp_ieee_overflow 0
		.amdhsa_exception_fp_ieee_underflow 0
		.amdhsa_exception_fp_ieee_inexact 0
		.amdhsa_exception_int_div_zero 0
	.end_amdhsa_kernel
	.text
.Lfunc_end0:
	.size	bluestein_single_back_len1014_dim1_dp_op_CI_CI, .Lfunc_end0-bluestein_single_back_len1014_dim1_dp_op_CI_CI
                                        ; -- End function
	.section	.AMDGPU.csdata,"",@progbits
; Kernel info:
; codeLenInByte = 24416
; NumSgprs: 54
; NumVgprs: 256
; ScratchSize: 168
; MemoryBound: 0
; FloatMode: 240
; IeeeMode: 1
; LDSByteSize: 32448 bytes/workgroup (compile time only)
; SGPRBlocks: 6
; VGPRBlocks: 31
; NumSGPRsForWavesPerEU: 54
; NumVGPRsForWavesPerEU: 256
; Occupancy: 4
; WaveLimiterHint : 1
; COMPUTE_PGM_RSRC2:SCRATCH_EN: 1
; COMPUTE_PGM_RSRC2:USER_SGPR: 6
; COMPUTE_PGM_RSRC2:TRAP_HANDLER: 0
; COMPUTE_PGM_RSRC2:TGID_X_EN: 1
; COMPUTE_PGM_RSRC2:TGID_Y_EN: 0
; COMPUTE_PGM_RSRC2:TGID_Z_EN: 0
; COMPUTE_PGM_RSRC2:TIDIG_COMP_CNT: 0
	.text
	.p2alignl 6, 3214868480
	.fill 48, 4, 3214868480
	.type	__hip_cuid_5c6eea4bcc7ade44,@object ; @__hip_cuid_5c6eea4bcc7ade44
	.section	.bss,"aw",@nobits
	.globl	__hip_cuid_5c6eea4bcc7ade44
__hip_cuid_5c6eea4bcc7ade44:
	.byte	0                               ; 0x0
	.size	__hip_cuid_5c6eea4bcc7ade44, 1

	.ident	"AMD clang version 19.0.0git (https://github.com/RadeonOpenCompute/llvm-project roc-6.4.0 25133 c7fe45cf4b819c5991fe208aaa96edf142730f1d)"
	.section	".note.GNU-stack","",@progbits
	.addrsig
	.addrsig_sym __hip_cuid_5c6eea4bcc7ade44
	.amdgpu_metadata
---
amdhsa.kernels:
  - .args:
      - .actual_access:  read_only
        .address_space:  global
        .offset:         0
        .size:           8
        .value_kind:     global_buffer
      - .actual_access:  read_only
        .address_space:  global
        .offset:         8
        .size:           8
        .value_kind:     global_buffer
      - .actual_access:  read_only
        .address_space:  global
        .offset:         16
        .size:           8
        .value_kind:     global_buffer
      - .actual_access:  read_only
        .address_space:  global
        .offset:         24
        .size:           8
        .value_kind:     global_buffer
      - .actual_access:  read_only
        .address_space:  global
        .offset:         32
        .size:           8
        .value_kind:     global_buffer
      - .offset:         40
        .size:           8
        .value_kind:     by_value
      - .address_space:  global
        .offset:         48
        .size:           8
        .value_kind:     global_buffer
      - .address_space:  global
        .offset:         56
        .size:           8
        .value_kind:     global_buffer
      - .address_space:  global
        .offset:         64
        .size:           8
        .value_kind:     global_buffer
      - .address_space:  global
        .offset:         72
        .size:           8
        .value_kind:     global_buffer
      - .offset:         80
        .size:           4
        .value_kind:     by_value
      - .address_space:  global
        .offset:         88
        .size:           8
        .value_kind:     global_buffer
      - .address_space:  global
        .offset:         96
        .size:           8
        .value_kind:     global_buffer
    .group_segment_fixed_size: 32448
    .kernarg_segment_align: 8
    .kernarg_segment_size: 104
    .language:       OpenCL C
    .language_version:
      - 2
      - 0
    .max_flat_workgroup_size: 156
    .name:           bluestein_single_back_len1014_dim1_dp_op_CI_CI
    .private_segment_fixed_size: 168
    .sgpr_count:     54
    .sgpr_spill_count: 0
    .symbol:         bluestein_single_back_len1014_dim1_dp_op_CI_CI.kd
    .uniform_work_group_size: 1
    .uses_dynamic_stack: false
    .vgpr_count:     256
    .vgpr_spill_count: 41
    .wavefront_size: 32
    .workgroup_processor_mode: 1
amdhsa.target:   amdgcn-amd-amdhsa--gfx1030
amdhsa.version:
  - 1
  - 2
...

	.end_amdgpu_metadata
